;; amdgpu-corpus repo=ROCm/rocFFT kind=compiled arch=gfx906 opt=O3
	.text
	.amdgcn_target "amdgcn-amd-amdhsa--gfx906"
	.amdhsa_code_object_version 6
	.protected	fft_rtc_back_len169_factors_13_13_wgs_156_tpt_13_dp_op_CI_CI_sbcc_twdbase8_2step ; -- Begin function fft_rtc_back_len169_factors_13_13_wgs_156_tpt_13_dp_op_CI_CI_sbcc_twdbase8_2step
	.globl	fft_rtc_back_len169_factors_13_13_wgs_156_tpt_13_dp_op_CI_CI_sbcc_twdbase8_2step
	.p2align	8
	.type	fft_rtc_back_len169_factors_13_13_wgs_156_tpt_13_dp_op_CI_CI_sbcc_twdbase8_2step,@function
fft_rtc_back_len169_factors_13_13_wgs_156_tpt_13_dp_op_CI_CI_sbcc_twdbase8_2step: ; @fft_rtc_back_len169_factors_13_13_wgs_156_tpt_13_dp_op_CI_CI_sbcc_twdbase8_2step
; %bb.0:
	s_load_dwordx4 s[0:3], s[4:5], 0x18
	s_load_dwordx2 s[30:31], s[4:5], 0x28
	s_mov_b32 s7, 0
	s_mov_b64 s[24:25], 0
	s_waitcnt lgkmcnt(0)
	s_load_dwordx2 s[28:29], s[0:1], 0x8
	s_waitcnt lgkmcnt(0)
	s_add_u32 s8, s28, -1
	s_addc_u32 s9, s29, -1
	s_add_u32 s10, 0, 0x55540000
	s_addc_u32 s11, 0, 0x55
	s_mul_hi_u32 s13, s10, -12
	s_add_i32 s11, s11, 0x15555500
	s_sub_i32 s13, s13, s10
	s_mul_i32 s16, s11, -12
	s_mul_i32 s12, s10, -12
	s_add_i32 s13, s13, s16
	s_mul_hi_u32 s14, s11, s12
	s_mul_i32 s15, s11, s12
	s_mul_i32 s17, s10, s13
	s_mul_hi_u32 s12, s10, s12
	s_mul_hi_u32 s16, s10, s13
	s_add_u32 s12, s12, s17
	s_addc_u32 s16, 0, s16
	s_add_u32 s12, s12, s15
	s_mul_hi_u32 s17, s11, s13
	s_addc_u32 s12, s16, s14
	s_addc_u32 s14, s17, 0
	s_mul_i32 s13, s11, s13
	s_add_u32 s12, s12, s13
	v_mov_b32_e32 v1, s12
	s_addc_u32 s13, 0, s14
	v_add_co_u32_e32 v1, vcc, s10, v1
	s_cmp_lg_u64 vcc, 0
	s_addc_u32 s10, s11, s13
	v_readfirstlane_b32 s13, v1
	s_mul_i32 s12, s8, s10
	s_mul_hi_u32 s14, s8, s13
	s_mul_hi_u32 s11, s8, s10
	s_add_u32 s12, s14, s12
	s_addc_u32 s11, 0, s11
	s_mul_hi_u32 s15, s9, s13
	s_mul_i32 s13, s9, s13
	s_add_u32 s12, s12, s13
	s_mul_hi_u32 s14, s9, s10
	s_addc_u32 s11, s11, s15
	s_addc_u32 s12, s14, 0
	s_mul_i32 s10, s9, s10
	s_add_u32 s10, s11, s10
	s_addc_u32 s11, 0, s12
	s_add_u32 s12, s10, 1
	s_addc_u32 s13, s11, 0
	s_add_u32 s14, s10, 2
	s_mul_i32 s16, s11, 12
	s_mul_hi_u32 s17, s10, 12
	s_addc_u32 s15, s11, 0
	s_add_i32 s17, s17, s16
	s_mul_i32 s16, s10, 12
	v_mov_b32_e32 v1, s16
	v_sub_co_u32_e32 v1, vcc, s8, v1
	s_cmp_lg_u64 vcc, 0
	s_subb_u32 s8, s9, s17
	v_subrev_co_u32_e32 v2, vcc, 12, v1
	s_cmp_lg_u64 vcc, 0
	s_subb_u32 s9, s8, 0
	v_readfirstlane_b32 s16, v2
	s_cmp_gt_u32 s16, 11
	s_cselect_b32 s16, -1, 0
	s_cmp_eq_u32 s9, 0
	s_cselect_b32 s9, s16, -1
	s_cmp_lg_u32 s9, 0
	s_cselect_b32 s9, s14, s12
	s_cselect_b32 s12, s15, s13
	v_readfirstlane_b32 s13, v1
	s_cmp_gt_u32 s13, 11
	s_cselect_b32 s13, -1, 0
	s_cmp_eq_u32 s8, 0
	s_cselect_b32 s8, s13, -1
	s_cmp_lg_u32 s8, 0
	s_cselect_b32 s9, s9, s10
	s_cselect_b32 s8, s12, s11
	s_add_u32 s36, s9, 1
	s_addc_u32 s37, s8, 0
	v_mov_b32_e32 v1, s36
	v_mov_b32_e32 v2, s37
	v_cmp_lt_u64_e32 vcc, s[6:7], v[1:2]
	s_cbranch_vccnz .LBB0_2
; %bb.1:
	v_cvt_f32_u32_e32 v1, s36
	s_sub_i32 s8, 0, s36
	s_mov_b32 s25, s7
	v_rcp_iflag_f32_e32 v1, v1
	v_mul_f32_e32 v1, 0x4f7ffffe, v1
	v_cvt_u32_f32_e32 v1, v1
	v_readfirstlane_b32 s9, v1
	s_mul_i32 s8, s8, s9
	s_mul_hi_u32 s8, s9, s8
	s_add_i32 s9, s9, s8
	s_mul_hi_u32 s8, s6, s9
	s_mul_i32 s10, s8, s36
	s_sub_i32 s10, s6, s10
	s_add_i32 s9, s8, 1
	s_sub_i32 s11, s10, s36
	s_cmp_ge_u32 s10, s36
	s_cselect_b32 s8, s9, s8
	s_cselect_b32 s10, s11, s10
	s_add_i32 s9, s8, 1
	s_cmp_ge_u32 s10, s36
	s_cselect_b32 s24, s9, s8
.LBB0_2:
	s_load_dwordx4 s[12:15], s[4:5], 0x60
	s_load_dwordx4 s[20:23], s[2:3], 0x0
	;; [unrolled: 1-line block ×3, first 2 shown]
	s_load_dwordx2 s[26:27], s[4:5], 0x0
	s_load_dwordx4 s[16:19], s[4:5], 0x8
	s_mul_i32 s4, s24, s37
	s_mul_hi_u32 s5, s24, s36
	s_add_i32 s5, s5, s4
	s_mul_i32 s4, s24, s36
	s_sub_u32 s52, s6, s4
	s_subb_u32 s4, 0, s5
	s_mul_i32 s4, s4, 12
	s_mul_hi_u32 s33, s52, 12
	s_add_i32 s33, s33, s4
	s_mul_i32 s52, s52, 12
	s_waitcnt lgkmcnt(0)
	s_mul_i32 s4, s22, s33
	s_mul_hi_u32 s5, s22, s52
	s_add_i32 s4, s5, s4
	s_mul_i32 s5, s23, s52
	s_add_i32 s35, s4, s5
	s_mul_i32 s4, s10, s33
	s_mul_hi_u32 s5, s10, s52
	v_cmp_lt_u64_e64 s[38:39], s[18:19], 3
	s_add_i32 s4, s5, s4
	s_mul_i32 s5, s11, s52
	s_mul_i32 s34, s22, s52
	s_add_i32 s5, s4, s5
	s_mul_i32 s4, s10, s52
	s_and_b64 vcc, exec, s[38:39]
	s_cbranch_vccnz .LBB0_12
; %bb.3:
	s_add_u32 s38, s30, 16
	s_addc_u32 s39, s31, 0
	s_add_u32 s40, s2, 16
	s_addc_u32 s41, s3, 0
	s_add_u32 s42, s0, 16
	v_mov_b32_e32 v1, s18
	s_addc_u32 s43, s1, 0
	s_mov_b64 s[44:45], 2
	s_mov_b32 s46, 0
	v_mov_b32_e32 v2, s19
.LBB0_4:                                ; =>This Inner Loop Header: Depth=1
	s_load_dwordx2 s[48:49], s[42:43], 0x0
	s_waitcnt lgkmcnt(0)
	s_or_b64 s[0:1], s[24:25], s[48:49]
	s_mov_b32 s47, s1
	s_cmp_lg_u64 s[46:47], 0
	s_cbranch_scc0 .LBB0_9
; %bb.5:                                ;   in Loop: Header=BB0_4 Depth=1
	v_cvt_f32_u32_e32 v3, s48
	v_cvt_f32_u32_e32 v4, s49
	s_sub_u32 s0, 0, s48
	s_subb_u32 s1, 0, s49
	v_mac_f32_e32 v3, 0x4f800000, v4
	v_rcp_f32_e32 v3, v3
	v_mul_f32_e32 v3, 0x5f7ffffc, v3
	v_mul_f32_e32 v4, 0x2f800000, v3
	v_trunc_f32_e32 v4, v4
	v_mac_f32_e32 v3, 0xcf800000, v4
	v_cvt_u32_f32_e32 v4, v4
	v_cvt_u32_f32_e32 v3, v3
	v_readfirstlane_b32 s47, v4
	v_readfirstlane_b32 s50, v3
	s_mul_i32 s51, s0, s47
	s_mul_hi_u32 s54, s0, s50
	s_mul_i32 s53, s1, s50
	s_add_i32 s51, s54, s51
	s_mul_i32 s55, s0, s50
	s_add_i32 s51, s51, s53
	s_mul_hi_u32 s53, s50, s51
	s_mul_i32 s54, s50, s51
	s_mul_hi_u32 s50, s50, s55
	s_add_u32 s50, s50, s54
	s_addc_u32 s53, 0, s53
	s_mul_hi_u32 s56, s47, s55
	s_mul_i32 s55, s47, s55
	s_add_u32 s50, s50, s55
	s_mul_hi_u32 s54, s47, s51
	s_addc_u32 s50, s53, s56
	s_addc_u32 s53, s54, 0
	s_mul_i32 s51, s47, s51
	s_add_u32 s50, s50, s51
	s_addc_u32 s51, 0, s53
	v_add_co_u32_e32 v3, vcc, s50, v3
	s_cmp_lg_u64 vcc, 0
	s_addc_u32 s47, s47, s51
	v_readfirstlane_b32 s51, v3
	s_mul_i32 s50, s0, s47
	s_mul_hi_u32 s53, s0, s51
	s_add_i32 s50, s53, s50
	s_mul_i32 s1, s1, s51
	s_add_i32 s50, s50, s1
	s_mul_i32 s0, s0, s51
	s_mul_hi_u32 s53, s47, s0
	s_mul_i32 s54, s47, s0
	s_mul_i32 s56, s51, s50
	s_mul_hi_u32 s0, s51, s0
	s_mul_hi_u32 s55, s51, s50
	s_add_u32 s0, s0, s56
	s_addc_u32 s51, 0, s55
	s_add_u32 s0, s0, s54
	s_mul_hi_u32 s1, s47, s50
	s_addc_u32 s0, s51, s53
	s_addc_u32 s1, s1, 0
	s_mul_i32 s50, s47, s50
	s_add_u32 s0, s0, s50
	s_addc_u32 s1, 0, s1
	v_add_co_u32_e32 v3, vcc, s0, v3
	s_cmp_lg_u64 vcc, 0
	s_addc_u32 s0, s47, s1
	v_readfirstlane_b32 s50, v3
	s_mul_i32 s47, s24, s0
	s_mul_hi_u32 s51, s24, s50
	s_mul_hi_u32 s1, s24, s0
	s_add_u32 s47, s51, s47
	s_addc_u32 s1, 0, s1
	s_mul_hi_u32 s53, s25, s50
	s_mul_i32 s50, s25, s50
	s_add_u32 s47, s47, s50
	s_mul_hi_u32 s51, s25, s0
	s_addc_u32 s1, s1, s53
	s_addc_u32 s47, s51, 0
	s_mul_i32 s0, s25, s0
	s_add_u32 s50, s1, s0
	s_addc_u32 s47, 0, s47
	s_mul_i32 s0, s48, s47
	s_mul_hi_u32 s1, s48, s50
	s_add_i32 s0, s1, s0
	s_mul_i32 s1, s49, s50
	s_add_i32 s51, s0, s1
	s_mul_i32 s1, s48, s50
	v_mov_b32_e32 v3, s1
	s_sub_i32 s0, s25, s51
	v_sub_co_u32_e32 v3, vcc, s24, v3
	s_cmp_lg_u64 vcc, 0
	s_subb_u32 s53, s0, s49
	v_subrev_co_u32_e64 v4, s[0:1], s48, v3
	s_cmp_lg_u64 s[0:1], 0
	s_subb_u32 s0, s53, 0
	s_cmp_ge_u32 s0, s49
	v_readfirstlane_b32 s53, v4
	s_cselect_b32 s1, -1, 0
	s_cmp_ge_u32 s53, s48
	s_cselect_b32 s53, -1, 0
	s_cmp_eq_u32 s0, s49
	s_cselect_b32 s0, s53, s1
	s_add_u32 s1, s50, 1
	s_addc_u32 s53, s47, 0
	s_add_u32 s54, s50, 2
	s_addc_u32 s55, s47, 0
	s_cmp_lg_u32 s0, 0
	s_cselect_b32 s0, s54, s1
	s_cselect_b32 s1, s55, s53
	s_cmp_lg_u64 vcc, 0
	s_subb_u32 s51, s25, s51
	s_cmp_ge_u32 s51, s49
	v_readfirstlane_b32 s54, v3
	s_cselect_b32 s53, -1, 0
	s_cmp_ge_u32 s54, s48
	s_cselect_b32 s54, -1, 0
	s_cmp_eq_u32 s51, s49
	s_cselect_b32 s51, s54, s53
	s_cmp_lg_u32 s51, 0
	s_cselect_b32 s1, s1, s47
	s_cselect_b32 s0, s0, s50
	s_cbranch_execnz .LBB0_7
.LBB0_6:                                ;   in Loop: Header=BB0_4 Depth=1
	v_cvt_f32_u32_e32 v3, s48
	s_sub_i32 s0, 0, s48
	v_rcp_iflag_f32_e32 v3, v3
	v_mul_f32_e32 v3, 0x4f7ffffe, v3
	v_cvt_u32_f32_e32 v3, v3
	v_readfirstlane_b32 s1, v3
	s_mul_i32 s0, s0, s1
	s_mul_hi_u32 s0, s1, s0
	s_add_i32 s1, s1, s0
	s_mul_hi_u32 s0, s24, s1
	s_mul_i32 s47, s0, s48
	s_sub_i32 s47, s24, s47
	s_add_i32 s1, s0, 1
	s_sub_i32 s50, s47, s48
	s_cmp_ge_u32 s47, s48
	s_cselect_b32 s0, s1, s0
	s_cselect_b32 s47, s50, s47
	s_add_i32 s1, s0, 1
	s_cmp_ge_u32 s47, s48
	s_cselect_b32 s0, s1, s0
	s_mov_b32 s1, s46
.LBB0_7:                                ;   in Loop: Header=BB0_4 Depth=1
	s_mul_i32 s37, s48, s37
	s_mul_hi_u32 s47, s48, s36
	s_add_i32 s37, s47, s37
	s_mul_i32 s47, s49, s36
	s_add_i32 s37, s37, s47
	s_mul_i32 s47, s0, s49
	s_mul_hi_u32 s49, s0, s48
	s_load_dwordx2 s[50:51], s[40:41], 0x0
	s_add_i32 s47, s49, s47
	s_mul_i32 s49, s1, s48
	s_mul_i32 s36, s48, s36
	s_add_i32 s47, s47, s49
	s_mul_i32 s48, s0, s48
	s_sub_u32 s48, s24, s48
	s_subb_u32 s47, s25, s47
	s_waitcnt lgkmcnt(0)
	s_mul_i32 s24, s50, s47
	s_mul_hi_u32 s25, s50, s48
	s_add_i32 s49, s25, s24
	s_load_dwordx2 s[24:25], s[38:39], 0x0
	s_mul_i32 s51, s51, s48
	s_add_i32 s49, s49, s51
	s_mul_i32 s50, s50, s48
	s_add_u32 s34, s50, s34
	s_addc_u32 s35, s49, s35
	s_waitcnt lgkmcnt(0)
	s_mul_i32 s47, s24, s47
	s_mul_hi_u32 s49, s24, s48
	s_add_i32 s47, s49, s47
	s_mul_i32 s25, s25, s48
	s_add_i32 s47, s47, s25
	s_mul_i32 s24, s24, s48
	s_add_u32 s4, s24, s4
	s_addc_u32 s5, s47, s5
	s_add_u32 s44, s44, 1
	s_addc_u32 s45, s45, 0
	;; [unrolled: 2-line block ×4, first 2 shown]
	v_cmp_ge_u64_e32 vcc, s[44:45], v[1:2]
	s_add_u32 s42, s42, 8
	s_addc_u32 s43, s43, 0
	s_cbranch_vccnz .LBB0_10
; %bb.8:                                ;   in Loop: Header=BB0_4 Depth=1
	s_mov_b64 s[24:25], s[0:1]
	s_branch .LBB0_4
.LBB0_9:                                ;   in Loop: Header=BB0_4 Depth=1
                                        ; implicit-def: $sgpr0_sgpr1
	s_branch .LBB0_6
.LBB0_10:
	v_mov_b32_e32 v1, s36
	v_mov_b32_e32 v2, s37
	v_cmp_lt_u64_e32 vcc, s[6:7], v[1:2]
	s_mov_b64 s[24:25], 0
	s_cbranch_vccnz .LBB0_12
; %bb.11:
	v_cvt_f32_u32_e32 v1, s36
	s_sub_i32 s0, 0, s36
	v_rcp_iflag_f32_e32 v1, v1
	v_mul_f32_e32 v1, 0x4f7ffffe, v1
	v_cvt_u32_f32_e32 v1, v1
	v_readfirstlane_b32 s1, v1
	s_mul_i32 s0, s0, s1
	s_mul_hi_u32 s0, s1, s0
	s_add_i32 s1, s1, s0
	s_mul_hi_u32 s0, s6, s1
	s_mul_i32 s7, s0, s36
	s_sub_i32 s6, s6, s7
	s_add_i32 s1, s0, 1
	s_sub_i32 s7, s6, s36
	s_cmp_ge_u32 s6, s36
	s_cselect_b32 s0, s1, s0
	s_cselect_b32 s6, s7, s6
	s_add_i32 s1, s0, 1
	s_cmp_ge_u32 s6, s36
	s_cselect_b32 s24, s1, s0
.LBB0_12:
	s_lshl_b64 s[36:37], s[18:19], 3
	s_add_u32 s18, s30, s36
	s_addc_u32 s19, s31, s37
	s_add_u32 s0, s52, 12
	v_mov_b32_e32 v1, s28
	s_addc_u32 s1, s33, 0
	v_mov_b32_e32 v2, s29
	v_cmp_le_u64_e32 vcc, s[0:1], v[1:2]
	v_mul_u32_u24_e32 v1, 0x1556, v0
	v_lshrrev_b32_e32 v62, 16, v1
	v_mul_lo_u16_e32 v1, 12, v62
	v_sub_u16_e32 v67, v0, v1
	v_mov_b32_e32 v2, s33
	v_add_co_u32_e64 v1, s[0:1], s52, v67
	v_addc_co_u32_e64 v2, s[0:1], 0, v2, s[0:1]
	v_cmp_gt_u64_e64 s[0:1], s[28:29], v[1:2]
	v_lshlrev_b32_e32 v68, 4, v62
	s_or_b64 s[6:7], vcc, s[0:1]
	v_add_u32_e32 v66, 13, v62
	v_add_u32_e32 v65, 26, v62
	;; [unrolled: 1-line block ×4, first 2 shown]
	s_and_saveexec_b64 s[0:1], s[6:7]
	s_cbranch_execz .LBB0_14
; %bb.13:
	s_add_u32 s2, s2, s36
	s_addc_u32 s3, s3, s37
	s_load_dwordx2 s[2:3], s[2:3], 0x0
	v_mad_u64_u32 v[1:2], s[28:29], s22, v67, 0
	v_mad_u64_u32 v[3:4], s[28:29], s20, v62, 0
	s_waitcnt lgkmcnt(0)
	s_mul_i32 s3, s3, s24
	s_mul_hi_u32 s25, s2, s24
	s_add_i32 s3, s25, s3
	s_mul_i32 s2, s2, s24
	v_mad_u64_u32 v[5:6], s[22:23], s23, v67, v[2:3]
	v_mov_b32_e32 v2, v4
	s_lshl_b64 s[2:3], s[2:3], 4
	v_mad_u64_u32 v[6:7], s[22:23], s21, v62, v[2:3]
	s_add_u32 s12, s12, s2
	s_addc_u32 s13, s13, s3
	s_lshl_b64 s[2:3], s[34:35], 4
	s_add_u32 s12, s12, s2
	s_addc_u32 s2, s13, s3
	v_mov_b32_e32 v2, v5
	v_mov_b32_e32 v4, v6
	v_mov_b32_e32 v7, s2
	v_mad_u64_u32 v[5:6], s[2:3], s20, v66, 0
	v_lshlrev_b64 v[1:2], 4, v[1:2]
	v_mad_u64_u32 v[11:12], s[2:3], s20, v65, 0
	v_add_co_u32_e32 v56, vcc, s12, v1
	v_addc_co_u32_e32 v57, vcc, v7, v2, vcc
	v_lshlrev_b64 v[1:2], 4, v[3:4]
	v_mov_b32_e32 v3, v6
	v_mad_u64_u32 v[3:4], s[2:3], s21, v66, v[3:4]
	v_add_co_u32_e32 v9, vcc, v56, v1
	v_mov_b32_e32 v6, v3
	v_addc_co_u32_e32 v10, vcc, v57, v2, vcc
	v_lshlrev_b64 v[1:2], 4, v[5:6]
	v_mad_u64_u32 v[15:16], s[2:3], s20, v64, 0
	v_add_co_u32_e32 v13, vcc, v56, v1
	v_mov_b32_e32 v1, v12
	v_mad_u64_u32 v[17:18], s[2:3], s21, v65, v[1:2]
	v_mov_b32_e32 v1, v16
	v_mad_u64_u32 v[18:19], s[2:3], s21, v64, v[1:2]
	v_mov_b32_e32 v12, v17
	v_addc_co_u32_e32 v14, vcc, v57, v2, vcc
	global_load_dwordx4 v[1:4], v[9:10], off
	global_load_dwordx4 v[5:8], v[13:14], off
	v_lshlrev_b64 v[9:10], 4, v[11:12]
	v_mad_u64_u32 v[21:22], s[2:3], s20, v63, 0
	v_add_co_u32_e32 v17, vcc, v56, v9
	v_mov_b32_e32 v16, v18
	v_addc_co_u32_e32 v18, vcc, v57, v10, vcc
	v_add_u32_e32 v10, 0x41, v62
	v_mad_u64_u32 v[23:24], s[2:3], s20, v10, 0
	v_mov_b32_e32 v9, v22
	v_mad_u64_u32 v[25:26], s[2:3], s21, v63, v[9:10]
	v_lshlrev_b64 v[11:12], 4, v[15:16]
	v_mov_b32_e32 v9, v24
	v_mad_u64_u32 v[26:27], s[2:3], s21, v10, v[9:10]
	v_add_co_u32_e32 v19, vcc, v56, v11
	v_mov_b32_e32 v22, v25
	v_addc_co_u32_e32 v20, vcc, v57, v12, vcc
	global_load_dwordx4 v[9:12], v[17:18], off
	global_load_dwordx4 v[13:16], v[19:20], off
	v_lshlrev_b64 v[17:18], 4, v[21:22]
	v_add_u32_e32 v19, 0x4e, v62
	v_mad_u64_u32 v[27:28], s[2:3], s20, v19, 0
	v_mov_b32_e32 v24, v26
	v_add_co_u32_e32 v25, vcc, v56, v17
	v_addc_co_u32_e32 v26, vcc, v57, v18, vcc
	v_lshlrev_b64 v[17:18], 4, v[23:24]
	v_add_u32_e32 v34, 0x5b, v62
	v_add_co_u32_e32 v29, vcc, v56, v17
	v_mov_b32_e32 v17, v28
	v_mad_u64_u32 v[31:32], s[2:3], s21, v19, v[17:18]
	v_mad_u64_u32 v[32:33], s[2:3], s20, v34, 0
	v_mov_b32_e32 v28, v31
	v_addc_co_u32_e32 v30, vcc, v57, v18, vcc
	global_load_dwordx4 v[17:20], v[25:26], off
	global_load_dwordx4 v[21:24], v[29:30], off
	v_lshlrev_b64 v[25:26], 4, v[27:28]
	v_mov_b32_e32 v27, v33
	v_mad_u64_u32 v[27:28], s[2:3], s21, v34, v[27:28]
	v_add_co_u32_e32 v34, vcc, v56, v25
	v_mov_b32_e32 v33, v27
	v_add_u32_e32 v27, 0x68, v62
	v_mad_u64_u32 v[36:37], s[2:3], s20, v27, 0
	v_addc_co_u32_e32 v35, vcc, v57, v26, vcc
	v_lshlrev_b64 v[25:26], 4, v[32:33]
	v_add_u32_e32 v43, 0x75, v62
	v_add_co_u32_e32 v38, vcc, v56, v25
	v_mov_b32_e32 v25, v37
	v_mad_u64_u32 v[40:41], s[2:3], s21, v27, v[25:26]
	v_mad_u64_u32 v[41:42], s[2:3], s20, v43, 0
	v_addc_co_u32_e32 v39, vcc, v57, v26, vcc
	global_load_dwordx4 v[25:28], v[34:35], off
	global_load_dwordx4 v[29:32], v[38:39], off
	v_mov_b32_e32 v37, v40
	v_mov_b32_e32 v35, v42
	v_lshlrev_b64 v[33:34], 4, v[36:37]
	v_mad_u64_u32 v[35:36], s[2:3], s21, v43, v[35:36]
	v_add_co_u32_e32 v43, vcc, v56, v33
	v_mov_b32_e32 v42, v35
	v_add_u32_e32 v35, 0x82, v62
	v_addc_co_u32_e32 v44, vcc, v57, v34, vcc
	v_lshlrev_b64 v[33:34], 4, v[41:42]
	v_mad_u64_u32 v[41:42], s[2:3], s20, v35, 0
	v_add_co_u32_e32 v45, vcc, v56, v33
	v_mov_b32_e32 v33, v42
	v_mad_u64_u32 v[47:48], s[2:3], s21, v35, v[33:34]
	v_add_u32_e32 v50, 0x8f, v62
	v_mad_u64_u32 v[48:49], s[2:3], s20, v50, 0
	v_addc_co_u32_e32 v46, vcc, v57, v34, vcc
	global_load_dwordx4 v[33:36], v[43:44], off
	global_load_dwordx4 v[37:40], v[45:46], off
	v_mov_b32_e32 v43, v49
	v_mad_u64_u32 v[43:44], s[2:3], s21, v50, v[43:44]
	v_add_u32_e32 v46, 0x9c, v62
	v_mad_u64_u32 v[44:45], s[2:3], s20, v46, 0
	v_mov_b32_e32 v42, v47
	v_lshlrev_b64 v[41:42], 4, v[41:42]
	v_mov_b32_e32 v49, v43
	v_mov_b32_e32 v43, v45
	v_add_co_u32_e32 v50, vcc, v56, v41
	v_mad_u64_u32 v[45:46], s[2:3], s21, v46, v[43:44]
	v_addc_co_u32_e32 v51, vcc, v57, v42, vcc
	v_lshlrev_b64 v[41:42], 4, v[48:49]
	v_lshlrev_b64 v[54:55], 4, v[44:45]
	v_add_co_u32_e32 v52, vcc, v56, v41
	v_addc_co_u32_e32 v53, vcc, v57, v42, vcc
	global_load_dwordx4 v[41:44], v[50:51], off
	global_load_dwordx4 v[45:48], v[52:53], off
	v_add_co_u32_e32 v49, vcc, v56, v54
	v_addc_co_u32_e32 v50, vcc, v57, v55, vcc
	global_load_dwordx4 v[49:52], v[49:50], off
	v_mul_u32_u24_e32 v53, 0xa90, v67
	v_add3_u32 v53, 0, v53, v68
	s_waitcnt vmcnt(12)
	ds_write_b128 v53, v[1:4]
	s_waitcnt vmcnt(11)
	ds_write_b128 v53, v[5:8] offset:208
	s_waitcnt vmcnt(10)
	ds_write_b128 v53, v[9:12] offset:416
	;; [unrolled: 2-line block ×12, first 2 shown]
.LBB0_14:
	s_or_b64 exec, exec, s[0:1]
	s_movk_i32 s0, 0x13b2
	v_mul_u32_u24_sdwa v1, v0, s0 dst_sel:DWORD dst_unused:UNUSED_PAD src0_sel:WORD_0 src1_sel:DWORD
	s_add_u32 s0, 0, 0x55540000
	s_addc_u32 s1, 0, 0x55
	s_load_dwordx2 s[2:3], s[18:19], 0x0
	s_add_i32 s1, s1, 0x15555500
	s_mul_hi_u32 s19, s0, -12
	s_sub_i32 s19, s19, s0
	s_mul_i32 s20, s1, -12
	s_mul_i32 s12, s0, -12
	s_add_i32 s19, s19, s20
	s_mul_hi_u32 s13, s1, s12
	s_mul_i32 s18, s1, s12
	s_mul_i32 s21, s0, s19
	s_mul_hi_u32 s12, s0, s12
	s_mul_hi_u32 s20, s0, s19
	s_add_u32 s12, s12, s21
	s_addc_u32 s20, 0, s20
	s_add_u32 s12, s12, s18
	s_mul_hi_u32 s21, s1, s19
	s_addc_u32 s12, s20, s13
	v_lshrrev_b32_e32 v5, 16, v1
	s_addc_u32 s13, s21, 0
	s_mul_i32 s18, s1, s19
	v_add_co_u32_e32 v70, vcc, s52, v5
	v_mov_b32_e32 v1, s33
	s_add_u32 s12, s12, s18
	v_addc_co_u32_e32 v6, vcc, 0, v1, vcc
	v_mov_b32_e32 v1, s12
	s_addc_u32 s13, 0, s13
	v_add_co_u32_e32 v3, vcc, s0, v1
	s_cmp_lg_u64 vcc, 0
	s_addc_u32 s12, s1, s13
	v_mad_u64_u32 v[1:2], s[0:1], v70, s12, 0
	v_mul_hi_u32 v4, v70, v3
	s_waitcnt lgkmcnt(0)
	s_barrier
	v_add_co_u32_e32 v7, vcc, v4, v1
	v_mad_u64_u32 v[3:4], s[0:1], v6, v3, 0
	v_addc_co_u32_e32 v8, vcc, 0, v2, vcc
	v_mad_u64_u32 v[1:2], s[0:1], v6, s12, 0
	v_add_co_u32_e32 v3, vcc, v7, v3
	v_addc_co_u32_e32 v3, vcc, v8, v4, vcc
	v_addc_co_u32_e32 v2, vcc, 0, v2, vcc
	v_add_co_u32_e32 v1, vcc, v3, v1
	v_addc_co_u32_e32 v3, vcc, 0, v2, vcc
	v_mad_u64_u32 v[1:2], s[0:1], v1, 12, 0
	s_mov_b32 s20, 0x42a4c3d2
	s_mov_b32 s30, 0x66966769
	v_mad_u64_u32 v[2:3], s[0:1], v3, 12, v[2:3]
	v_sub_co_u32_e32 v1, vcc, v70, v1
	v_subb_co_u32_e32 v2, vcc, v6, v2, vcc
	v_subrev_co_u32_e32 v3, vcc, 12, v1
	v_subbrev_co_u32_e32 v4, vcc, 0, v2, vcc
	v_cmp_lt_u32_e64 s[0:1], 11, v3
	v_cmp_eq_u32_e32 vcc, 0, v4
	v_cndmask_b32_e64 v4, 0, -1, s[0:1]
	v_cndmask_b32_e32 v4, -1, v4, vcc
	v_cmp_ne_u32_e32 vcc, 0, v4
	v_add_u32_e32 v4, -12, v3
	v_cmp_lt_u32_e64 s[0:1], 11, v1
	v_cndmask_b32_e32 v3, v3, v4, vcc
	v_cmp_eq_u32_e32 vcc, 0, v2
	v_cndmask_b32_e64 v2, 0, -1, s[0:1]
	v_cndmask_b32_e32 v2, -1, v2, vcc
	v_cmp_ne_u32_e32 vcc, 0, v2
	v_cndmask_b32_e32 v1, v1, v3, vcc
	v_mul_u32_u24_e32 v1, 0xa9, v1
	v_mul_lo_u16_e32 v2, 13, v5
	v_sub_u16_e32 v71, v0, v2
	v_lshlrev_b32_e32 v0, 4, v1
	v_add_u32_e32 v73, 0, v0
	v_lshlrev_b32_e32 v1, 4, v71
	v_add_u32_e32 v72, v73, v1
	ds_read_b128 v[44:47], v72
	v_add3_u32 v69, 0, v1, v0
	ds_read_b128 v[48:51], v69 offset:208
	ds_read_b128 v[36:39], v69 offset:416
	;; [unrolled: 1-line block ×12, first 2 shown]
	s_mov_b32 s0, 0x4267c47c
	s_mov_b32 s38, 0x2ef20147
	s_waitcnt lgkmcnt(11)
	v_add_f64 v[0:1], v[44:45], v[48:49]
	v_add_f64 v[2:3], v[46:47], v[50:51]
	s_waitcnt lgkmcnt(0)
	v_add_f64 v[58:59], v[50:51], v[54:55]
	v_add_f64 v[50:51], v[50:51], -v[54:55]
	s_mov_b32 s44, 0x24c2f84
	s_mov_b32 s50, 0x4bc48dbf
	s_mov_b32 s1, 0xbfddbe06
	s_mov_b32 s21, 0xbfea55e2
	v_add_f64 v[0:1], v[0:1], v[36:37]
	v_add_f64 v[2:3], v[2:3], v[38:39]
	s_mov_b32 s31, 0xbfefc445
	s_mov_b32 s39, 0xbfedeba7
	;; [unrolled: 1-line block ×4, first 2 shown]
	v_add_f64 v[56:57], v[48:49], v[52:53]
	v_add_f64 v[48:49], v[48:49], -v[52:53]
	v_add_f64 v[0:1], v[0:1], v[28:29]
	v_add_f64 v[2:3], v[2:3], v[30:31]
	v_mul_f64 v[76:77], v[50:51], s[20:21]
	v_mul_f64 v[84:85], v[50:51], s[30:31]
	v_mul_f64 v[92:93], v[50:51], s[38:39]
	v_mul_f64 v[100:101], v[50:51], s[44:45]
	s_mov_b32 s12, 0xe00740e9
	s_mov_b32 s22, 0x1ea71119
	v_add_f64 v[0:1], v[0:1], v[20:21]
	v_add_f64 v[2:3], v[2:3], v[22:23]
	s_mov_b32 s34, 0xebaa3ed8
	s_mov_b32 s40, 0xb2365da1
	;; [unrolled: 1-line block ×6, first 2 shown]
	v_add_f64 v[0:1], v[0:1], v[12:13]
	v_add_f64 v[2:3], v[2:3], v[14:15]
	s_mov_b32 s35, 0x3fbedb7d
	s_mov_b32 s41, 0xbfd6b1d8
	;; [unrolled: 1-line block ×4, first 2 shown]
	v_mul_f64 v[60:61], v[58:59], s[12:13]
	v_fma_f64 v[78:79], v[56:57], s[22:23], v[76:77]
	v_add_f64 v[0:1], v[0:1], v[4:5]
	v_add_f64 v[2:3], v[2:3], v[6:7]
	v_mul_f64 v[80:81], v[58:59], s[22:23]
	v_fma_f64 v[76:77], v[56:57], s[22:23], -v[76:77]
	v_fma_f64 v[86:87], v[56:57], s[34:35], v[84:85]
	v_mul_f64 v[88:89], v[58:59], s[34:35]
	v_fma_f64 v[84:85], v[56:57], s[34:35], -v[84:85]
	v_fma_f64 v[94:95], v[56:57], s[40:41], v[92:93]
	v_add_f64 v[0:1], v[0:1], v[8:9]
	v_add_f64 v[2:3], v[2:3], v[10:11]
	v_mul_f64 v[96:97], v[58:59], s[40:41]
	v_fma_f64 v[92:93], v[56:57], s[40:41], -v[92:93]
	v_fma_f64 v[102:103], v[56:57], s[46:47], v[100:101]
	v_mul_f64 v[104:105], v[58:59], s[46:47]
	v_fma_f64 v[100:101], v[56:57], s[46:47], -v[100:101]
	v_mul_f64 v[58:59], v[58:59], s[52:53]
	v_add_f64 v[0:1], v[0:1], v[16:17]
	v_add_f64 v[2:3], v[2:3], v[18:19]
	s_mov_b32 s19, 0x3fddbe06
	s_mov_b32 s18, s0
	;; [unrolled: 1-line block ×6, first 2 shown]
	v_add_f64 v[0:1], v[0:1], v[24:25]
	v_add_f64 v[2:3], v[2:3], v[26:27]
	s_mov_b32 s43, 0x3fedeba7
	s_mov_b32 s42, s38
	;; [unrolled: 1-line block ×6, first 2 shown]
	v_add_f64 v[0:1], v[0:1], v[32:33]
	v_add_f64 v[2:3], v[2:3], v[34:35]
	v_fma_f64 v[74:75], v[48:49], s[18:19], v[60:61]
	v_fma_f64 v[60:61], v[48:49], s[0:1], v[60:61]
	v_add_f64 v[78:79], v[44:45], v[78:79]
	v_fma_f64 v[82:83], v[48:49], s[28:29], v[80:81]
	v_add_f64 v[76:77], v[44:45], v[76:77]
	;; [unrolled: 2-line block ×3, first 2 shown]
	v_add_f64 v[2:3], v[2:3], v[42:43]
	v_add_f64 v[86:87], v[44:45], v[86:87]
	v_fma_f64 v[90:91], v[48:49], s[36:37], v[88:89]
	v_add_f64 v[84:85], v[44:45], v[84:85]
	v_fma_f64 v[88:89], v[48:49], s[30:31], v[88:89]
	;; [unrolled: 2-line block ×3, first 2 shown]
	v_add_f64 v[0:1], v[0:1], v[52:53]
	v_mul_f64 v[52:53], v[50:51], s[0:1]
	v_mul_f64 v[50:51], v[50:51], s[50:51]
	v_add_f64 v[2:3], v[2:3], v[54:55]
	v_add_f64 v[92:93], v[44:45], v[92:93]
	v_fma_f64 v[96:97], v[48:49], s[38:39], v[96:97]
	v_add_f64 v[102:103], v[44:45], v[102:103]
	v_fma_f64 v[106:107], v[48:49], s[48:49], v[104:105]
	;; [unrolled: 2-line block ×3, first 2 shown]
	v_fma_f64 v[52:53], v[56:57], s[12:13], -v[52:53]
	v_fma_f64 v[108:109], v[56:57], s[52:53], v[50:51]
	v_fma_f64 v[50:51], v[56:57], s[52:53], -v[50:51]
	v_fma_f64 v[104:105], v[48:49], s[44:45], v[104:105]
	v_fma_f64 v[110:111], v[48:49], s[54:55], v[58:59]
	;; [unrolled: 1-line block ×3, first 2 shown]
	v_add_f64 v[74:75], v[46:47], v[74:75]
	v_add_f64 v[54:55], v[44:45], v[54:55]
	;; [unrolled: 1-line block ×6, first 2 shown]
	v_add_f64 v[38:39], v[38:39], -v[42:43]
	v_add_f64 v[60:61], v[46:47], v[60:61]
	v_add_f64 v[82:83], v[46:47], v[82:83]
	;; [unrolled: 1-line block ×12, first 2 shown]
	v_add_f64 v[36:37], v[36:37], -v[40:41]
	v_mul_f64 v[40:41], v[38:39], s[20:21]
	s_movk_i32 s25, 0xd0
	s_barrier
	v_fma_f64 v[42:43], v[48:49], s[22:23], v[40:41]
	v_fma_f64 v[40:41], v[48:49], s[22:23], -v[40:41]
	v_add_f64 v[42:43], v[42:43], v[54:55]
	v_mul_f64 v[54:55], v[50:51], s[22:23]
	v_add_f64 v[40:41], v[40:41], v[52:53]
	v_fma_f64 v[56:57], v[36:37], s[28:29], v[54:55]
	v_fma_f64 v[52:53], v[36:37], s[20:21], v[54:55]
	v_mul_f64 v[54:55], v[38:39], s[38:39]
	v_add_f64 v[56:57], v[56:57], v[74:75]
	v_add_f64 v[52:53], v[52:53], v[60:61]
	v_fma_f64 v[58:59], v[48:49], s[40:41], v[54:55]
	v_mul_f64 v[60:61], v[50:51], s[40:41]
	v_fma_f64 v[54:55], v[48:49], s[40:41], -v[54:55]
	v_add_f64 v[58:59], v[58:59], v[78:79]
	v_fma_f64 v[74:75], v[36:37], s[42:43], v[60:61]
	v_add_f64 v[54:55], v[54:55], v[76:77]
	v_fma_f64 v[60:61], v[36:37], s[38:39], v[60:61]
	v_mul_f64 v[76:77], v[38:39], s[50:51]
	v_add_f64 v[74:75], v[74:75], v[82:83]
	v_add_f64 v[60:61], v[60:61], v[80:81]
	v_fma_f64 v[78:79], v[48:49], s[52:53], v[76:77]
	v_mul_f64 v[80:81], v[50:51], s[52:53]
	v_fma_f64 v[76:77], v[48:49], s[52:53], -v[76:77]
	v_add_f64 v[78:79], v[78:79], v[86:87]
	v_fma_f64 v[82:83], v[36:37], s[54:55], v[80:81]
	v_add_f64 v[76:77], v[76:77], v[84:85]
	v_fma_f64 v[80:81], v[36:37], s[50:51], v[80:81]
	v_mul_f64 v[84:85], v[38:39], s[48:49]
	v_add_f64 v[82:83], v[82:83], v[90:91]
	v_add_f64 v[80:81], v[80:81], v[88:89]
	v_fma_f64 v[86:87], v[48:49], s[46:47], v[84:85]
	v_mul_f64 v[88:89], v[50:51], s[46:47]
	v_fma_f64 v[84:85], v[48:49], s[46:47], -v[84:85]
	v_add_f64 v[86:87], v[86:87], v[94:95]
	v_fma_f64 v[90:91], v[36:37], s[44:45], v[88:89]
	v_add_f64 v[84:85], v[84:85], v[92:93]
	v_fma_f64 v[88:89], v[36:37], s[48:49], v[88:89]
	v_mul_f64 v[92:93], v[38:39], s[36:37]
	v_mul_f64 v[38:39], v[38:39], s[18:19]
	v_add_f64 v[90:91], v[90:91], v[98:99]
	v_add_f64 v[88:89], v[88:89], v[96:97]
	v_fma_f64 v[94:95], v[48:49], s[34:35], v[92:93]
	v_mul_f64 v[96:97], v[50:51], s[34:35]
	v_mul_f64 v[50:51], v[50:51], s[12:13]
	v_fma_f64 v[92:93], v[48:49], s[34:35], -v[92:93]
	v_add_f64 v[94:95], v[94:95], v[102:103]
	v_fma_f64 v[98:99], v[36:37], s[30:31], v[96:97]
	v_fma_f64 v[96:97], v[36:37], s[36:37], v[96:97]
	;; [unrolled: 1-line block ×4, first 2 shown]
	v_add_f64 v[92:93], v[92:93], v[100:101]
	v_fma_f64 v[100:101], v[48:49], s[12:13], v[38:39]
	v_fma_f64 v[38:39], v[48:49], s[12:13], -v[38:39]
	v_add_f64 v[98:99], v[98:99], v[106:107]
	v_add_f64 v[96:97], v[96:97], v[104:105]
	;; [unrolled: 1-line block ×5, first 2 shown]
	v_add_f64 v[30:31], v[30:31], -v[34:35]
	v_add_f64 v[38:39], v[38:39], v[44:45]
	v_add_f64 v[44:45], v[28:29], v[32:33]
	v_add_f64 v[28:29], v[28:29], -v[32:33]
	v_add_f64 v[100:101], v[100:101], v[108:109]
	v_mul_f64 v[32:33], v[30:31], s[30:31]
	v_fma_f64 v[34:35], v[44:45], s[34:35], v[32:33]
	v_fma_f64 v[32:33], v[44:45], s[34:35], -v[32:33]
	v_add_f64 v[34:35], v[34:35], v[42:43]
	v_mul_f64 v[42:43], v[46:47], s[34:35]
	v_add_f64 v[32:33], v[32:33], v[40:41]
	v_fma_f64 v[48:49], v[28:29], s[36:37], v[42:43]
	v_fma_f64 v[40:41], v[28:29], s[30:31], v[42:43]
	v_mul_f64 v[42:43], v[30:31], s[50:51]
	v_add_f64 v[48:49], v[48:49], v[56:57]
	v_add_f64 v[40:41], v[40:41], v[52:53]
	v_fma_f64 v[50:51], v[44:45], s[52:53], v[42:43]
	v_fma_f64 v[42:43], v[44:45], s[52:53], -v[42:43]
	v_mul_f64 v[52:53], v[46:47], s[52:53]
	v_add_f64 v[50:51], v[50:51], v[58:59]
	v_add_f64 v[42:43], v[42:43], v[54:55]
	v_mul_f64 v[54:55], v[30:31], s[42:43]
	v_fma_f64 v[56:57], v[28:29], s[54:55], v[52:53]
	v_fma_f64 v[52:53], v[28:29], s[50:51], v[52:53]
	;; [unrolled: 1-line block ×3, first 2 shown]
	v_fma_f64 v[54:55], v[44:45], s[40:41], -v[54:55]
	v_add_f64 v[52:53], v[52:53], v[60:61]
	v_mul_f64 v[60:61], v[46:47], s[40:41]
	v_add_f64 v[56:57], v[56:57], v[74:75]
	v_add_f64 v[58:59], v[58:59], v[78:79]
	;; [unrolled: 1-line block ×3, first 2 shown]
	v_mul_f64 v[76:77], v[30:31], s[18:19]
	v_fma_f64 v[74:75], v[28:29], s[38:39], v[60:61]
	v_fma_f64 v[60:61], v[28:29], s[42:43], v[60:61]
	v_fma_f64 v[78:79], v[44:45], s[12:13], v[76:77]
	v_fma_f64 v[76:77], v[44:45], s[12:13], -v[76:77]
	v_add_f64 v[60:61], v[60:61], v[80:81]
	v_mul_f64 v[80:81], v[46:47], s[12:13]
	v_add_f64 v[74:75], v[74:75], v[82:83]
	v_add_f64 v[78:79], v[78:79], v[86:87]
	;; [unrolled: 1-line block ×3, first 2 shown]
	v_mul_f64 v[84:85], v[30:31], s[20:21]
	v_fma_f64 v[82:83], v[28:29], s[0:1], v[80:81]
	v_fma_f64 v[80:81], v[28:29], s[18:19], v[80:81]
	v_mul_f64 v[30:31], v[30:31], s[44:45]
	v_fma_f64 v[86:87], v[44:45], s[22:23], v[84:85]
	v_fma_f64 v[84:85], v[44:45], s[22:23], -v[84:85]
	v_add_f64 v[80:81], v[80:81], v[88:89]
	v_mul_f64 v[88:89], v[46:47], s[22:23]
	v_mul_f64 v[46:47], v[46:47], s[46:47]
	v_add_f64 v[82:83], v[82:83], v[90:91]
	v_add_f64 v[86:87], v[86:87], v[94:95]
	;; [unrolled: 1-line block ×3, first 2 shown]
	v_fma_f64 v[92:93], v[44:45], s[46:47], v[30:31]
	v_fma_f64 v[30:31], v[44:45], s[46:47], -v[30:31]
	v_fma_f64 v[90:91], v[28:29], s[28:29], v[88:89]
	v_fma_f64 v[88:89], v[28:29], s[20:21], v[88:89]
	v_fma_f64 v[94:95], v[28:29], s[48:49], v[46:47]
	v_fma_f64 v[28:29], v[28:29], s[44:45], v[46:47]
	v_add_f64 v[92:93], v[92:93], v[100:101]
	v_add_f64 v[30:31], v[30:31], v[38:39]
	;; [unrolled: 1-line block ×3, first 2 shown]
	v_add_f64 v[22:23], v[22:23], -v[26:27]
	v_add_f64 v[88:89], v[88:89], v[96:97]
	v_add_f64 v[28:29], v[28:29], v[36:37]
	;; [unrolled: 1-line block ×3, first 2 shown]
	v_add_f64 v[20:21], v[20:21], -v[24:25]
	v_add_f64 v[96:97], v[12:13], -v[16:17]
	v_add_f64 v[90:91], v[90:91], v[98:99]
	v_mul_f64 v[46:47], v[38:39], s[46:47]
	v_mul_f64 v[24:25], v[22:23], s[38:39]
	v_add_f64 v[94:95], v[94:95], v[102:103]
	v_fma_f64 v[26:27], v[36:37], s[40:41], v[24:25]
	v_fma_f64 v[24:25], v[36:37], s[40:41], -v[24:25]
	v_add_f64 v[26:27], v[26:27], v[34:35]
	v_mul_f64 v[34:35], v[38:39], s[40:41]
	v_add_f64 v[24:25], v[24:25], v[32:33]
	v_fma_f64 v[44:45], v[20:21], s[42:43], v[34:35]
	v_fma_f64 v[32:33], v[20:21], s[38:39], v[34:35]
	v_mul_f64 v[34:35], v[22:23], s[48:49]
	v_add_f64 v[44:45], v[44:45], v[48:49]
	v_add_f64 v[32:33], v[32:33], v[40:41]
	v_fma_f64 v[40:41], v[36:37], s[46:47], v[34:35]
	v_fma_f64 v[34:35], v[36:37], s[46:47], -v[34:35]
	v_fma_f64 v[48:49], v[20:21], s[44:45], v[46:47]
	v_add_f64 v[40:41], v[40:41], v[50:51]
	v_add_f64 v[34:35], v[34:35], v[42:43]
	v_fma_f64 v[42:43], v[20:21], s[48:49], v[46:47]
	v_add_f64 v[48:49], v[48:49], v[56:57]
	v_mul_f64 v[46:47], v[22:23], s[18:19]
	v_add_f64 v[42:43], v[42:43], v[52:53]
	v_mul_f64 v[52:53], v[38:39], s[12:13]
	v_fma_f64 v[50:51], v[36:37], s[12:13], v[46:47]
	v_fma_f64 v[46:47], v[36:37], s[12:13], -v[46:47]
	v_fma_f64 v[56:57], v[20:21], s[0:1], v[52:53]
	v_fma_f64 v[52:53], v[20:21], s[18:19], v[52:53]
	v_add_f64 v[46:47], v[46:47], v[54:55]
	v_add_f64 v[50:51], v[50:51], v[58:59]
	;; [unrolled: 1-line block ×4, first 2 shown]
	v_mul_f64 v[52:53], v[22:23], s[30:31]
	v_fma_f64 v[54:55], v[36:37], s[34:35], v[52:53]
	v_fma_f64 v[52:53], v[36:37], s[34:35], -v[52:53]
	v_add_f64 v[78:79], v[54:55], v[78:79]
	v_mul_f64 v[54:55], v[38:39], s[34:35]
	v_add_f64 v[76:77], v[52:53], v[76:77]
	v_fma_f64 v[52:53], v[20:21], s[30:31], v[54:55]
	v_fma_f64 v[58:59], v[20:21], s[36:37], v[54:55]
	v_add_f64 v[80:81], v[52:53], v[80:81]
	v_mul_f64 v[52:53], v[22:23], s[54:55]
	v_mul_f64 v[22:23], v[22:23], s[28:29]
	v_add_f64 v[82:83], v[58:59], v[82:83]
	v_fma_f64 v[54:55], v[36:37], s[52:53], v[52:53]
	v_fma_f64 v[52:53], v[36:37], s[52:53], -v[52:53]
	v_add_f64 v[86:87], v[54:55], v[86:87]
	v_mul_f64 v[54:55], v[38:39], s[52:53]
	v_add_f64 v[84:85], v[52:53], v[84:85]
	v_mul_f64 v[38:39], v[38:39], s[22:23]
	v_fma_f64 v[52:53], v[20:21], s[54:55], v[54:55]
	v_fma_f64 v[58:59], v[20:21], s[50:51], v[54:55]
	v_add_f64 v[88:89], v[52:53], v[88:89]
	v_fma_f64 v[52:53], v[36:37], s[22:23], v[22:23]
	v_fma_f64 v[22:23], v[36:37], s[22:23], -v[22:23]
	v_add_f64 v[90:91], v[58:59], v[90:91]
	v_add_f64 v[92:93], v[52:53], v[92:93]
	v_fma_f64 v[52:53], v[20:21], s[20:21], v[38:39]
	v_fma_f64 v[20:21], v[20:21], s[28:29], v[38:39]
	v_add_f64 v[22:23], v[22:23], v[30:31]
	v_add_f64 v[30:31], v[12:13], v[16:17]
	;; [unrolled: 1-line block ×5, first 2 shown]
	v_add_f64 v[18:19], v[14:15], -v[18:19]
	v_mul_f64 v[12:13], v[18:19], s[44:45]
	v_fma_f64 v[14:15], v[30:31], s[46:47], v[12:13]
	v_fma_f64 v[12:13], v[30:31], s[46:47], -v[12:13]
	v_add_f64 v[98:99], v[14:15], v[26:27]
	v_mul_f64 v[14:15], v[28:29], s[46:47]
	v_add_f64 v[102:103], v[12:13], v[24:25]
	v_mul_f64 v[24:25], v[28:29], s[34:35]
	v_fma_f64 v[16:17], v[96:97], s[48:49], v[14:15]
	v_fma_f64 v[12:13], v[96:97], s[44:45], v[14:15]
	v_mul_f64 v[14:15], v[18:19], s[36:37]
	v_add_f64 v[100:101], v[16:17], v[44:45]
	v_add_f64 v[104:105], v[12:13], v[32:33]
	v_fma_f64 v[12:13], v[30:31], s[34:35], v[14:15]
	v_fma_f64 v[14:15], v[30:31], s[34:35], -v[14:15]
	v_add_f64 v[16:17], v[12:13], v[40:41]
	v_fma_f64 v[12:13], v[96:97], s[30:31], v[24:25]
	v_fma_f64 v[24:25], v[96:97], s[36:37], v[24:25]
	v_add_f64 v[14:15], v[14:15], v[34:35]
	v_add_f64 v[12:13], v[12:13], v[48:49]
	;; [unrolled: 1-line block ×3, first 2 shown]
	v_mul_f64 v[24:25], v[18:19], s[20:21]
	v_fma_f64 v[26:27], v[30:31], s[22:23], v[24:25]
	v_fma_f64 v[24:25], v[30:31], s[22:23], -v[24:25]
	v_add_f64 v[58:59], v[26:27], v[50:51]
	v_mul_f64 v[26:27], v[28:29], s[22:23]
	v_add_f64 v[54:55], v[24:25], v[46:47]
	v_add_f64 v[46:47], v[6:7], -v[10:11]
	v_fma_f64 v[32:33], v[96:97], s[28:29], v[26:27]
	v_fma_f64 v[24:25], v[96:97], s[20:21], v[26:27]
	v_add_f64 v[52:53], v[32:33], v[56:57]
	v_add_f64 v[56:57], v[24:25], v[74:75]
	v_mul_f64 v[24:25], v[18:19], s[54:55]
	v_mul_f64 v[74:75], v[46:47], s[18:19]
	v_fma_f64 v[26:27], v[30:31], s[52:53], v[24:25]
	v_fma_f64 v[24:25], v[30:31], s[52:53], -v[24:25]
	v_add_f64 v[50:51], v[26:27], v[78:79]
	v_mul_f64 v[26:27], v[28:29], s[52:53]
	v_add_f64 v[44:45], v[24:25], v[76:77]
	v_fma_f64 v[24:25], v[96:97], s[54:55], v[26:27]
	v_fma_f64 v[32:33], v[96:97], s[50:51], v[26:27]
	v_add_f64 v[42:43], v[24:25], v[80:81]
	v_mul_f64 v[24:25], v[18:19], s[18:19]
	v_mul_f64 v[18:19], v[18:19], s[38:39]
	v_add_f64 v[48:49], v[32:33], v[82:83]
	v_fma_f64 v[26:27], v[30:31], s[12:13], v[24:25]
	v_fma_f64 v[24:25], v[30:31], s[12:13], -v[24:25]
	v_add_f64 v[34:35], v[26:27], v[86:87]
	v_mul_f64 v[26:27], v[28:29], s[12:13]
	v_add_f64 v[38:39], v[24:25], v[84:85]
	v_fma_f64 v[24:25], v[96:97], s[18:19], v[26:27]
	v_fma_f64 v[32:33], v[96:97], s[0:1], v[26:27]
	v_mul_f64 v[26:27], v[28:29], s[40:41]
	v_add_f64 v[40:41], v[24:25], v[88:89]
	v_fma_f64 v[24:25], v[30:31], s[40:41], v[18:19]
	v_add_f64 v[36:37], v[32:33], v[90:91]
	v_fma_f64 v[18:19], v[30:31], s[40:41], -v[18:19]
	v_add_f64 v[30:31], v[6:7], v[10:11]
	v_add_f64 v[32:33], v[24:25], v[92:93]
	v_fma_f64 v[24:25], v[96:97], s[42:43], v[26:27]
	v_mul_f64 v[76:77], v[30:31], s[12:13]
	v_add_f64 v[28:29], v[24:25], v[94:95]
	v_add_f64 v[24:25], v[18:19], v[22:23]
	v_fma_f64 v[18:19], v[96:97], s[38:39], v[26:27]
	v_add_f64 v[26:27], v[4:5], v[8:9]
	v_add_f64 v[22:23], v[4:5], -v[8:9]
	v_mul_f64 v[4:5], v[46:47], s[50:51]
	v_add_f64 v[20:21], v[18:19], v[20:21]
	v_fma_f64 v[18:19], v[26:27], s[12:13], v[74:75]
	v_fma_f64 v[6:7], v[26:27], s[52:53], v[4:5]
	v_fma_f64 v[4:5], v[26:27], s[52:53], -v[4:5]
	v_add_f64 v[16:17], v[18:19], v[16:17]
	v_fma_f64 v[18:19], v[22:23], s[0:1], v[76:77]
	v_add_f64 v[8:9], v[6:7], v[98:99]
	v_mul_f64 v[6:7], v[30:31], s[52:53]
	v_add_f64 v[4:5], v[4:5], v[102:103]
	v_add_f64 v[18:19], v[18:19], v[12:13]
	v_fma_f64 v[12:13], v[26:27], s[12:13], -v[74:75]
	v_mul_f64 v[74:75], v[46:47], s[44:45]
	v_fma_f64 v[10:11], v[22:23], s[54:55], v[6:7]
	v_fma_f64 v[6:7], v[22:23], s[50:51], v[6:7]
	v_add_f64 v[12:13], v[12:13], v[14:15]
	v_fma_f64 v[14:15], v[22:23], s[18:19], v[76:77]
	v_mul_f64 v[76:77], v[30:31], s[46:47]
	v_add_f64 v[10:11], v[10:11], v[100:101]
	v_add_f64 v[6:7], v[6:7], v[104:105]
	;; [unrolled: 1-line block ×3, first 2 shown]
	v_fma_f64 v[60:61], v[26:27], s[46:47], v[74:75]
	v_add_f64 v[58:59], v[60:61], v[58:59]
	v_fma_f64 v[60:61], v[22:23], s[48:49], v[76:77]
	v_add_f64 v[60:61], v[60:61], v[52:53]
	v_fma_f64 v[52:53], v[26:27], s[46:47], -v[74:75]
	v_add_f64 v[52:53], v[52:53], v[54:55]
	v_fma_f64 v[54:55], v[22:23], s[44:45], v[76:77]
	v_add_f64 v[54:55], v[54:55], v[56:57]
	v_mul_f64 v[56:57], v[46:47], s[28:29]
	v_fma_f64 v[74:75], v[26:27], s[22:23], v[56:57]
	v_add_f64 v[74:75], v[74:75], v[50:51]
	v_mul_f64 v[50:51], v[30:31], s[22:23]
	v_fma_f64 v[76:77], v[22:23], s[20:21], v[50:51]
	v_add_f64 v[76:77], v[76:77], v[48:49]
	v_fma_f64 v[48:49], v[26:27], s[22:23], -v[56:57]
	v_add_f64 v[48:49], v[48:49], v[44:45]
	v_fma_f64 v[44:45], v[22:23], s[28:29], v[50:51]
	v_add_f64 v[50:51], v[44:45], v[42:43]
	v_mul_f64 v[42:43], v[46:47], s[38:39]
	v_mul_f64 v[46:47], v[46:47], s[36:37]
	v_fma_f64 v[44:45], v[26:27], s[40:41], v[42:43]
	v_fma_f64 v[42:43], v[26:27], s[40:41], -v[42:43]
	v_add_f64 v[34:35], v[44:45], v[34:35]
	v_mul_f64 v[44:45], v[30:31], s[40:41]
	v_add_f64 v[38:39], v[42:43], v[38:39]
	v_mul_f64 v[30:31], v[30:31], s[34:35]
	v_fma_f64 v[42:43], v[22:23], s[38:39], v[44:45]
	v_fma_f64 v[56:57], v[22:23], s[42:43], v[44:45]
	v_add_f64 v[40:41], v[42:43], v[40:41]
	v_fma_f64 v[42:43], v[26:27], s[34:35], v[46:47]
	v_fma_f64 v[26:27], v[26:27], s[34:35], -v[46:47]
	v_add_f64 v[36:37], v[56:57], v[36:37]
	v_add_f64 v[42:43], v[42:43], v[32:33]
	v_fma_f64 v[32:33], v[22:23], s[30:31], v[30:31]
	v_fma_f64 v[22:23], v[22:23], s[36:37], v[30:31]
	v_add_f64 v[24:25], v[26:27], v[24:25]
	v_add_f64 v[44:45], v[32:33], v[28:29]
	v_add_f64 v[26:27], v[22:23], v[20:21]
	v_mad_u32_u24 v20, v71, s25, v73
	ds_write_b128 v20, v[0:3]
	ds_write_b128 v20, v[8:11] offset:16
	ds_write_b128 v20, v[16:19] offset:32
	;; [unrolled: 1-line block ×12, first 2 shown]
	v_mul_u32_u24_e32 v20, 12, v71
	v_lshlrev_b32_e32 v86, 4, v20
	s_waitcnt lgkmcnt(0)
	s_barrier
	ds_read_b128 v[0:3], v72
	ds_read_b128 v[4:7], v69 offset:208
	ds_read_b128 v[8:11], v69 offset:416
	;; [unrolled: 1-line block ×12, first 2 shown]
	global_load_dwordx4 v[20:23], v86, s[26:27] offset:48
	global_load_dwordx4 v[24:27], v86, s[26:27] offset:32
	global_load_dwordx4 v[28:31], v86, s[26:27] offset:16
	global_load_dwordx4 v[76:79], v86, s[26:27]
	s_waitcnt vmcnt(0) lgkmcnt(11)
	v_mul_f64 v[60:61], v[6:7], v[78:79]
	v_fma_f64 v[60:61], v[4:5], v[76:77], v[60:61]
	v_mul_f64 v[4:5], v[4:5], v[78:79]
	v_fma_f64 v[80:81], v[6:7], v[76:77], -v[4:5]
	s_waitcnt lgkmcnt(10)
	v_mul_f64 v[4:5], v[10:11], v[30:31]
	v_fma_f64 v[82:83], v[8:9], v[28:29], v[4:5]
	v_mul_f64 v[4:5], v[8:9], v[30:31]
	v_fma_f64 v[84:85], v[10:11], v[28:29], -v[4:5]
	s_waitcnt lgkmcnt(9)
	;; [unrolled: 5-line block ×3, first 2 shown]
	v_mul_f64 v[4:5], v[18:19], v[22:23]
	v_fma_f64 v[26:27], v[16:17], v[20:21], v[4:5]
	v_mul_f64 v[4:5], v[16:17], v[22:23]
	v_fma_f64 v[24:25], v[18:19], v[20:21], -v[4:5]
	global_load_dwordx4 v[4:7], v86, s[26:27] offset:112
	global_load_dwordx4 v[76:79], v86, s[26:27] offset:96
	;; [unrolled: 1-line block ×4, first 2 shown]
	s_waitcnt vmcnt(3) lgkmcnt(4)
	v_mul_f64 v[18:19], v[46:47], v[6:7]
	v_mul_f64 v[6:7], v[44:45], v[6:7]
	s_waitcnt vmcnt(0)
	v_mul_f64 v[8:9], v[34:35], v[16:17]
	v_fma_f64 v[22:23], v[44:45], v[4:5], v[18:19]
	v_fma_f64 v[18:19], v[46:47], v[4:5], -v[6:7]
	v_fma_f64 v[20:21], v[32:33], v[14:15], v[8:9]
	v_mul_f64 v[8:9], v[32:33], v[16:17]
	v_fma_f64 v[16:17], v[34:35], v[14:15], -v[8:9]
	v_mul_f64 v[8:9], v[38:39], v[12:13]
	v_mul_f64 v[12:13], v[36:37], v[12:13]
	v_mul_f64 v[14:15], v[40:41], v[78:79]
	v_fma_f64 v[8:9], v[36:37], v[10:11], v[8:9]
	v_fma_f64 v[10:11], v[38:39], v[10:11], -v[12:13]
	v_mul_f64 v[12:13], v[42:43], v[78:79]
	v_fma_f64 v[14:15], v[42:43], v[76:77], -v[14:15]
	v_fma_f64 v[12:13], v[40:41], v[76:77], v[12:13]
	global_load_dwordx4 v[4:7], v86, s[26:27] offset:176
	global_load_dwordx4 v[36:39], v86, s[26:27] offset:160
	;; [unrolled: 1-line block ×4, first 2 shown]
	s_waitcnt vmcnt(0) lgkmcnt(3)
	v_mul_f64 v[32:33], v[50:51], v[46:47]
	v_fma_f64 v[34:35], v[48:49], v[44:45], v[32:33]
	v_mul_f64 v[32:33], v[48:49], v[46:47]
	v_fma_f64 v[32:33], v[50:51], v[44:45], -v[32:33]
	s_waitcnt lgkmcnt(2)
	v_mul_f64 v[44:45], v[54:55], v[42:43]
	v_mul_f64 v[42:43], v[52:53], v[42:43]
	v_fma_f64 v[44:45], v[52:53], v[40:41], v[44:45]
	v_fma_f64 v[40:41], v[54:55], v[40:41], -v[42:43]
	s_waitcnt lgkmcnt(1)
	v_mul_f64 v[42:43], v[58:59], v[38:39]
	v_mul_f64 v[38:39], v[56:57], v[38:39]
	v_fma_f64 v[42:43], v[56:57], v[36:37], v[42:43]
	;; [unrolled: 5-line block ×3, first 2 shown]
	v_fma_f64 v[46:47], v[74:75], v[4:5], -v[6:7]
	v_add_f64 v[6:7], v[2:3], v[80:81]
	v_add_f64 v[4:5], v[0:1], v[60:61]
	;; [unrolled: 1-line block ×6, first 2 shown]
	v_mul_f64 v[56:57], v[50:51], s[12:13]
	v_add_f64 v[6:7], v[6:7], v[28:29]
	v_add_f64 v[4:5], v[4:5], v[30:31]
	v_mul_f64 v[74:75], v[50:51], s[22:23]
	v_mul_f64 v[86:87], v[50:51], s[34:35]
	;; [unrolled: 1-line block ×5, first 2 shown]
	v_add_f64 v[6:7], v[6:7], v[24:25]
	v_add_f64 v[4:5], v[4:5], v[26:27]
	;; [unrolled: 1-line block ×17, first 2 shown]
	v_add_f64 v[46:47], v[80:81], -v[46:47]
	v_add_f64 v[4:5], v[4:5], v[38:39]
	v_add_f64 v[38:39], v[60:61], -v[38:39]
	v_mul_f64 v[52:53], v[46:47], s[0:1]
	v_mul_f64 v[60:61], v[46:47], s[20:21]
	v_mul_f64 v[78:79], v[46:47], s[30:31]
	v_mul_f64 v[90:91], v[46:47], s[38:39]
	v_mul_f64 v[98:99], v[46:47], s[44:45]
	v_mul_f64 v[46:47], v[46:47], s[50:51]
	v_fma_f64 v[58:59], v[38:39], s[18:19], v[56:57]
	v_fma_f64 v[56:57], v[38:39], s[0:1], v[56:57]
	;; [unrolled: 1-line block ×3, first 2 shown]
	v_fma_f64 v[52:53], v[48:49], s[12:13], -v[52:53]
	v_fma_f64 v[72:73], v[48:49], s[22:23], v[60:61]
	v_fma_f64 v[60:61], v[48:49], s[22:23], -v[60:61]
	v_fma_f64 v[80:81], v[48:49], s[34:35], v[78:79]
	;; [unrolled: 2-line block ×5, first 2 shown]
	v_fma_f64 v[46:47], v[48:49], s[52:53], -v[46:47]
	v_add_f64 v[54:55], v[0:1], v[54:55]
	v_add_f64 v[52:53], v[0:1], v[52:53]
	;; [unrolled: 1-line block ×3, first 2 shown]
	v_fma_f64 v[76:77], v[38:39], s[28:29], v[74:75]
	v_add_f64 v[60:61], v[0:1], v[60:61]
	v_fma_f64 v[74:75], v[38:39], s[20:21], v[74:75]
	v_add_f64 v[80:81], v[0:1], v[80:81]
	;; [unrolled: 2-line block ×10, first 2 shown]
	v_add_f64 v[36:37], v[84:85], -v[36:37]
	v_add_f64 v[58:59], v[2:3], v[58:59]
	v_add_f64 v[56:57], v[2:3], v[56:57]
	v_add_f64 v[76:77], v[2:3], v[76:77]
	v_add_f64 v[74:75], v[2:3], v[74:75]
	v_add_f64 v[88:89], v[2:3], v[88:89]
	v_add_f64 v[86:87], v[2:3], v[86:87]
	v_add_f64 v[96:97], v[2:3], v[96:97]
	v_add_f64 v[94:95], v[2:3], v[94:95]
	v_add_f64 v[104:105], v[2:3], v[104:105]
	v_add_f64 v[102:103], v[2:3], v[102:103]
	v_add_f64 v[108:109], v[2:3], v[108:109]
	v_add_f64 v[2:3], v[2:3], v[38:39]
	v_add_f64 v[38:39], v[82:83], v[42:43]
	v_mul_f64 v[48:49], v[36:37], s[20:21]
	v_add_f64 v[42:43], v[82:83], -v[42:43]
	v_fma_f64 v[50:51], v[38:39], s[22:23], v[48:49]
	v_fma_f64 v[48:49], v[38:39], s[22:23], -v[48:49]
	v_add_f64 v[50:51], v[50:51], v[54:55]
	v_mul_f64 v[54:55], v[46:47], s[22:23]
	v_add_f64 v[48:49], v[48:49], v[52:53]
	v_fma_f64 v[82:83], v[42:43], s[28:29], v[54:55]
	v_fma_f64 v[52:53], v[42:43], s[20:21], v[54:55]
	v_mul_f64 v[54:55], v[36:37], s[38:39]
	v_add_f64 v[58:59], v[82:83], v[58:59]
	v_add_f64 v[52:53], v[52:53], v[56:57]
	v_fma_f64 v[56:57], v[38:39], s[40:41], v[54:55]
	v_fma_f64 v[54:55], v[38:39], s[40:41], -v[54:55]
	v_add_f64 v[56:57], v[56:57], v[72:73]
	v_mul_f64 v[72:73], v[46:47], s[40:41]
	v_add_f64 v[54:55], v[54:55], v[60:61]
	v_fma_f64 v[82:83], v[42:43], s[42:43], v[72:73]
	v_fma_f64 v[60:61], v[42:43], s[38:39], v[72:73]
	v_mul_f64 v[72:73], v[36:37], s[50:51]
	v_add_f64 v[76:77], v[82:83], v[76:77]
	v_add_f64 v[60:61], v[60:61], v[74:75]
	;; [unrolled: 10-line block ×3, first 2 shown]
	v_fma_f64 v[84:85], v[38:39], s[46:47], v[80:81]
	v_fma_f64 v[80:81], v[38:39], s[46:47], -v[80:81]
	v_mul_f64 v[86:87], v[46:47], s[46:47]
	v_add_f64 v[84:85], v[84:85], v[92:93]
	v_add_f64 v[80:81], v[80:81], v[90:91]
	v_mul_f64 v[90:91], v[36:37], s[36:37]
	v_fma_f64 v[88:89], v[42:43], s[44:45], v[86:87]
	v_fma_f64 v[86:87], v[42:43], s[48:49], v[86:87]
	v_mul_f64 v[36:37], v[36:37], s[18:19]
	v_fma_f64 v[92:93], v[38:39], s[34:35], v[90:91]
	v_fma_f64 v[90:91], v[38:39], s[34:35], -v[90:91]
	v_add_f64 v[86:87], v[86:87], v[94:95]
	v_mul_f64 v[94:95], v[46:47], s[34:35]
	v_mul_f64 v[46:47], v[46:47], s[12:13]
	v_add_f64 v[88:89], v[88:89], v[96:97]
	v_add_f64 v[92:93], v[92:93], v[100:101]
	;; [unrolled: 1-line block ×3, first 2 shown]
	v_fma_f64 v[98:99], v[38:39], s[12:13], v[36:37]
	v_fma_f64 v[36:37], v[38:39], s[12:13], -v[36:37]
	v_add_f64 v[38:39], v[28:29], v[40:41]
	v_add_f64 v[28:29], v[28:29], -v[40:41]
	v_fma_f64 v[96:97], v[42:43], s[30:31], v[94:95]
	v_fma_f64 v[94:95], v[42:43], s[36:37], v[94:95]
	;; [unrolled: 1-line block ×3, first 2 shown]
	v_add_f64 v[98:99], v[98:99], v[106:107]
	v_add_f64 v[0:1], v[36:37], v[0:1]
	v_fma_f64 v[36:37], v[42:43], s[18:19], v[46:47]
	v_mul_f64 v[40:41], v[28:29], s[30:31]
	v_add_f64 v[96:97], v[96:97], v[104:105]
	v_add_f64 v[94:95], v[94:95], v[102:103]
	;; [unrolled: 1-line block ×5, first 2 shown]
	v_add_f64 v[30:31], v[30:31], -v[44:45]
	v_mul_f64 v[44:45], v[38:39], s[34:35]
	v_fma_f64 v[42:43], v[36:37], s[34:35], v[40:41]
	v_fma_f64 v[40:41], v[36:37], s[34:35], -v[40:41]
	v_fma_f64 v[46:47], v[30:31], s[36:37], v[44:45]
	v_fma_f64 v[44:45], v[30:31], s[30:31], v[44:45]
	v_add_f64 v[42:43], v[42:43], v[50:51]
	v_add_f64 v[40:41], v[40:41], v[48:49]
	v_mul_f64 v[48:49], v[28:29], s[50:51]
	v_add_f64 v[44:45], v[44:45], v[52:53]
	v_mul_f64 v[52:53], v[38:39], s[52:53]
	v_add_f64 v[46:47], v[46:47], v[58:59]
	v_fma_f64 v[50:51], v[36:37], s[52:53], v[48:49]
	v_fma_f64 v[48:49], v[36:37], s[52:53], -v[48:49]
	v_add_f64 v[50:51], v[50:51], v[56:57]
	v_add_f64 v[48:49], v[48:49], v[54:55]
	v_mul_f64 v[54:55], v[28:29], s[42:43]
	v_fma_f64 v[56:57], v[30:31], s[54:55], v[52:53]
	v_fma_f64 v[52:53], v[30:31], s[50:51], v[52:53]
	;; [unrolled: 1-line block ×3, first 2 shown]
	v_fma_f64 v[54:55], v[36:37], s[40:41], -v[54:55]
	v_add_f64 v[52:53], v[52:53], v[60:61]
	v_mul_f64 v[60:61], v[38:39], s[40:41]
	v_add_f64 v[56:57], v[56:57], v[76:77]
	v_add_f64 v[58:59], v[58:59], v[74:75]
	;; [unrolled: 1-line block ×3, first 2 shown]
	v_mul_f64 v[72:73], v[28:29], s[18:19]
	v_fma_f64 v[74:75], v[30:31], s[38:39], v[60:61]
	v_fma_f64 v[60:61], v[30:31], s[42:43], v[60:61]
	;; [unrolled: 1-line block ×3, first 2 shown]
	v_fma_f64 v[72:73], v[36:37], s[12:13], -v[72:73]
	v_add_f64 v[60:61], v[60:61], v[78:79]
	v_mul_f64 v[78:79], v[38:39], s[12:13]
	v_add_f64 v[74:75], v[74:75], v[82:83]
	v_add_f64 v[76:77], v[76:77], v[84:85]
	;; [unrolled: 1-line block ×3, first 2 shown]
	v_mul_f64 v[80:81], v[28:29], s[20:21]
	v_fma_f64 v[82:83], v[30:31], s[0:1], v[78:79]
	v_fma_f64 v[78:79], v[30:31], s[18:19], v[78:79]
	v_mul_f64 v[28:29], v[28:29], s[44:45]
	v_fma_f64 v[84:85], v[36:37], s[22:23], v[80:81]
	v_fma_f64 v[80:81], v[36:37], s[22:23], -v[80:81]
	v_add_f64 v[78:79], v[78:79], v[86:87]
	v_mul_f64 v[86:87], v[38:39], s[22:23]
	v_mul_f64 v[38:39], v[38:39], s[46:47]
	v_add_f64 v[82:83], v[82:83], v[88:89]
	v_add_f64 v[84:85], v[84:85], v[92:93]
	;; [unrolled: 1-line block ×3, first 2 shown]
	v_fma_f64 v[90:91], v[36:37], s[46:47], v[28:29]
	v_fma_f64 v[28:29], v[36:37], s[46:47], -v[28:29]
	v_fma_f64 v[88:89], v[30:31], s[28:29], v[86:87]
	v_fma_f64 v[86:87], v[30:31], s[20:21], v[86:87]
	;; [unrolled: 1-line block ×3, first 2 shown]
	v_add_f64 v[90:91], v[90:91], v[98:99]
	v_add_f64 v[0:1], v[28:29], v[0:1]
	v_fma_f64 v[28:29], v[30:31], s[44:45], v[38:39]
	v_add_f64 v[30:31], v[24:25], v[32:33]
	v_add_f64 v[24:25], v[24:25], -v[32:33]
	v_add_f64 v[86:87], v[86:87], v[94:95]
	v_add_f64 v[88:89], v[88:89], v[96:97]
	;; [unrolled: 1-line block ×5, first 2 shown]
	v_mul_f64 v[32:33], v[24:25], s[38:39]
	v_add_f64 v[26:27], v[26:27], -v[34:35]
	v_mul_f64 v[36:37], v[30:31], s[40:41]
	v_fma_f64 v[34:35], v[28:29], s[40:41], v[32:33]
	v_fma_f64 v[32:33], v[28:29], s[40:41], -v[32:33]
	v_fma_f64 v[38:39], v[26:27], s[42:43], v[36:37]
	v_fma_f64 v[36:37], v[26:27], s[38:39], v[36:37]
	v_add_f64 v[34:35], v[34:35], v[42:43]
	v_add_f64 v[32:33], v[32:33], v[40:41]
	v_mul_f64 v[40:41], v[24:25], s[48:49]
	v_add_f64 v[36:37], v[36:37], v[44:45]
	v_mul_f64 v[44:45], v[30:31], s[46:47]
	v_add_f64 v[38:39], v[38:39], v[46:47]
	v_fma_f64 v[42:43], v[28:29], s[46:47], v[40:41]
	v_fma_f64 v[40:41], v[28:29], s[46:47], -v[40:41]
	v_fma_f64 v[46:47], v[26:27], s[44:45], v[44:45]
	v_fma_f64 v[44:45], v[26:27], s[48:49], v[44:45]
	v_add_f64 v[42:43], v[42:43], v[50:51]
	v_add_f64 v[40:41], v[40:41], v[48:49]
	v_mul_f64 v[48:49], v[24:25], s[18:19]
	v_add_f64 v[44:45], v[44:45], v[52:53]
	v_mul_f64 v[52:53], v[30:31], s[12:13]
	v_add_f64 v[46:47], v[46:47], v[56:57]
	;; [unrolled: 10-line block ×3, first 2 shown]
	v_fma_f64 v[58:59], v[28:29], s[34:35], v[54:55]
	v_fma_f64 v[54:55], v[28:29], s[34:35], -v[54:55]
	v_fma_f64 v[74:75], v[26:27], s[36:37], v[60:61]
	v_fma_f64 v[60:61], v[26:27], s[30:31], v[60:61]
	v_add_f64 v[58:59], v[58:59], v[76:77]
	v_add_f64 v[54:55], v[54:55], v[72:73]
	v_mul_f64 v[72:73], v[24:25], s[54:55]
	v_mul_f64 v[24:25], v[24:25], s[28:29]
	v_add_f64 v[60:61], v[60:61], v[78:79]
	v_mul_f64 v[78:79], v[30:31], s[52:53]
	v_mul_f64 v[30:31], v[30:31], s[22:23]
	v_add_f64 v[74:75], v[74:75], v[82:83]
	v_fma_f64 v[76:77], v[28:29], s[52:53], v[72:73]
	v_fma_f64 v[72:73], v[28:29], s[52:53], -v[72:73]
	v_fma_f64 v[82:83], v[26:27], s[50:51], v[78:79]
	v_fma_f64 v[78:79], v[26:27], s[54:55], v[78:79]
	v_add_f64 v[76:77], v[76:77], v[84:85]
	v_add_f64 v[72:73], v[72:73], v[80:81]
	v_fma_f64 v[80:81], v[28:29], s[22:23], v[24:25]
	v_fma_f64 v[24:25], v[28:29], s[22:23], -v[24:25]
	v_fma_f64 v[84:85], v[26:27], s[20:21], v[30:31]
	v_add_f64 v[78:79], v[78:79], v[86:87]
	v_add_f64 v[82:83], v[82:83], v[88:89]
	;; [unrolled: 1-line block ×5, first 2 shown]
	v_fma_f64 v[24:25], v[26:27], s[28:29], v[30:31]
	v_add_f64 v[26:27], v[16:17], v[18:19]
	v_add_f64 v[16:17], v[16:17], -v[18:19]
	v_add_f64 v[90:91], v[10:11], v[14:15]
	v_add_f64 v[84:85], v[84:85], v[92:93]
	v_add_f64 v[92:93], v[8:9], -v[12:13]
	v_add_f64 v[2:3], v[24:25], v[2:3]
	v_add_f64 v[24:25], v[20:21], v[22:23]
	v_add_f64 v[20:21], v[20:21], -v[22:23]
	v_mul_f64 v[28:29], v[26:27], s[46:47]
	v_mul_f64 v[18:19], v[16:17], s[44:45]
	;; [unrolled: 1-line block ×3, first 2 shown]
	v_fma_f64 v[30:31], v[20:21], s[48:49], v[28:29]
	v_fma_f64 v[28:29], v[20:21], s[44:45], v[28:29]
	;; [unrolled: 1-line block ×3, first 2 shown]
	v_fma_f64 v[18:19], v[24:25], s[46:47], -v[18:19]
	v_add_f64 v[30:31], v[30:31], v[38:39]
	v_add_f64 v[28:29], v[28:29], v[36:37]
	v_mul_f64 v[36:37], v[26:27], s[34:35]
	v_add_f64 v[18:19], v[18:19], v[32:33]
	v_mul_f64 v[32:33], v[16:17], s[36:37]
	v_add_f64 v[22:23], v[22:23], v[34:35]
	v_fma_f64 v[38:39], v[20:21], s[30:31], v[36:37]
	v_fma_f64 v[36:37], v[20:21], s[36:37], v[36:37]
	;; [unrolled: 1-line block ×3, first 2 shown]
	v_fma_f64 v[32:33], v[24:25], s[34:35], -v[32:33]
	v_add_f64 v[38:39], v[38:39], v[46:47]
	v_add_f64 v[36:37], v[36:37], v[44:45]
	v_mul_f64 v[44:45], v[26:27], s[22:23]
	v_add_f64 v[32:33], v[32:33], v[40:41]
	v_mul_f64 v[40:41], v[16:17], s[20:21]
	v_add_f64 v[34:35], v[34:35], v[42:43]
	v_fma_f64 v[46:47], v[20:21], s[28:29], v[44:45]
	v_fma_f64 v[44:45], v[20:21], s[20:21], v[44:45]
	v_fma_f64 v[42:43], v[24:25], s[22:23], v[40:41]
	v_fma_f64 v[40:41], v[24:25], s[22:23], -v[40:41]
	v_add_f64 v[56:57], v[46:47], v[56:57]
	v_mul_f64 v[46:47], v[16:17], s[54:55]
	v_add_f64 v[42:43], v[42:43], v[50:51]
	v_add_f64 v[40:41], v[40:41], v[48:49]
	;; [unrolled: 1-line block ×3, first 2 shown]
	v_fma_f64 v[48:49], v[24:25], s[52:53], v[46:47]
	v_fma_f64 v[46:47], v[24:25], s[52:53], -v[46:47]
	v_add_f64 v[58:59], v[48:49], v[58:59]
	v_mul_f64 v[48:49], v[26:27], s[52:53]
	v_add_f64 v[86:87], v[46:47], v[54:55]
	v_fma_f64 v[46:47], v[20:21], s[54:55], v[48:49]
	v_fma_f64 v[50:51], v[20:21], s[50:51], v[48:49]
	v_add_f64 v[60:61], v[46:47], v[60:61]
	v_mul_f64 v[46:47], v[16:17], s[18:19]
	v_mul_f64 v[16:17], v[16:17], s[38:39]
	v_add_f64 v[74:75], v[50:51], v[74:75]
	v_fma_f64 v[48:49], v[24:25], s[12:13], v[46:47]
	v_fma_f64 v[46:47], v[24:25], s[12:13], -v[46:47]
	v_add_f64 v[76:77], v[48:49], v[76:77]
	v_mul_f64 v[48:49], v[26:27], s[12:13]
	v_add_f64 v[72:73], v[46:47], v[72:73]
	v_mul_f64 v[26:27], v[26:27], s[40:41]
	v_fma_f64 v[46:47], v[20:21], s[18:19], v[48:49]
	v_fma_f64 v[50:51], v[20:21], s[0:1], v[48:49]
	v_add_f64 v[78:79], v[46:47], v[78:79]
	v_fma_f64 v[46:47], v[24:25], s[40:41], v[16:17]
	v_fma_f64 v[16:17], v[24:25], s[40:41], -v[16:17]
	v_add_f64 v[82:83], v[50:51], v[82:83]
	v_mul_f64 v[24:25], v[90:91], s[22:23]
	v_add_f64 v[80:81], v[46:47], v[80:81]
	v_fma_f64 v[46:47], v[20:21], s[42:43], v[26:27]
	v_add_f64 v[0:1], v[16:17], v[0:1]
	v_fma_f64 v[16:17], v[20:21], s[38:39], v[26:27]
	v_add_f64 v[26:27], v[10:11], -v[14:15]
	v_fma_f64 v[14:15], v[92:93], s[54:55], v[12:13]
	v_mul_f64 v[20:21], v[90:91], s[46:47]
	v_add_f64 v[84:85], v[46:47], v[84:85]
	v_add_f64 v[2:3], v[16:17], v[2:3]
	v_mul_f64 v[10:11], v[26:27], s[50:51]
	v_add_f64 v[54:55], v[14:15], v[30:31]
	v_mul_f64 v[14:15], v[26:27], s[18:19]
	v_mul_f64 v[16:17], v[90:91], s[12:13]
	;; [unrolled: 1-line block ×3, first 2 shown]
	v_fma_f64 v[8:9], v[88:89], s[52:53], v[10:11]
	v_fma_f64 v[10:11], v[88:89], s[52:53], -v[10:11]
	v_add_f64 v[8:9], v[8:9], v[22:23]
	v_add_f64 v[50:51], v[10:11], v[18:19]
	v_fma_f64 v[10:11], v[92:93], s[50:51], v[12:13]
	v_mul_f64 v[18:19], v[26:27], s[44:45]
	v_mul_f64 v[22:23], v[26:27], s[28:29]
	v_fma_f64 v[12:13], v[92:93], s[0:1], v[16:17]
	v_add_f64 v[48:49], v[10:11], v[28:29]
	v_fma_f64 v[10:11], v[88:89], s[12:13], v[14:15]
	v_fma_f64 v[14:15], v[88:89], s[12:13], -v[14:15]
	v_add_f64 v[12:13], v[12:13], v[38:39]
	v_mul_f64 v[28:29], v[26:27], s[38:39]
	v_add_f64 v[10:11], v[10:11], v[34:35]
	v_add_f64 v[46:47], v[14:15], v[32:33]
	v_fma_f64 v[14:15], v[92:93], s[18:19], v[16:17]
	v_fma_f64 v[16:17], v[92:93], s[48:49], v[20:21]
	v_mul_f64 v[32:33], v[90:91], s[34:35]
	v_add_f64 v[52:53], v[14:15], v[36:37]
	v_fma_f64 v[14:15], v[88:89], s[46:47], v[18:19]
	v_fma_f64 v[18:19], v[88:89], s[46:47], -v[18:19]
	v_add_f64 v[16:17], v[16:17], v[56:57]
	v_mul_lo_u32 v57, v70, v71
	v_mov_b32_e32 v56, 4
	v_add_f64 v[14:15], v[14:15], v[42:43]
	v_add_f64 v[42:43], v[18:19], v[40:41]
	v_fma_f64 v[18:19], v[92:93], s[44:45], v[20:21]
	v_fma_f64 v[20:21], v[92:93], s[20:21], v[24:25]
	v_add_f64 v[44:45], v[18:19], v[44:45]
	v_fma_f64 v[18:19], v[88:89], s[22:23], v[22:23]
	v_fma_f64 v[22:23], v[88:89], s[22:23], -v[22:23]
	v_add_f64 v[20:21], v[20:21], v[74:75]
	v_add_f64 v[18:19], v[18:19], v[58:59]
	;; [unrolled: 1-line block ×3, first 2 shown]
	v_fma_f64 v[22:23], v[92:93], s[28:29], v[24:25]
	v_fma_f64 v[24:25], v[92:93], s[42:43], v[30:31]
	v_bfe_u32 v58, v57, 8, 8
	v_add_f64 v[40:41], v[22:23], v[60:61]
	v_fma_f64 v[22:23], v[88:89], s[40:41], v[28:29]
	v_fma_f64 v[28:29], v[88:89], s[40:41], -v[28:29]
	v_add_f64 v[24:25], v[24:25], v[82:83]
	v_add_f64 v[22:23], v[22:23], v[76:77]
	;; [unrolled: 1-line block ×3, first 2 shown]
	v_fma_f64 v[28:29], v[92:93], s[38:39], v[30:31]
	v_mul_f64 v[30:31], v[26:27], s[36:37]
	v_add_f64 v[36:37], v[28:29], v[78:79]
	v_fma_f64 v[26:27], v[88:89], s[34:35], v[30:31]
	v_fma_f64 v[30:31], v[88:89], s[34:35], -v[30:31]
	v_fma_f64 v[28:29], v[92:93], s[30:31], v[32:33]
	v_add_f64 v[26:27], v[26:27], v[80:81]
	v_add_f64 v[30:31], v[30:31], v[0:1]
	v_fma_f64 v[0:1], v[92:93], s[36:37], v[32:33]
	v_add_f64 v[28:29], v[28:29], v[84:85]
	v_add_f64 v[32:33], v[0:1], v[2:3]
	v_lshlrev_b32_sdwa v0, v56, v57 dst_sel:DWORD dst_unused:UNUSED_PAD src0_sel:DWORD src1_sel:BYTE_0
	v_mov_b32_e32 v57, 0x1000
	v_lshl_or_b32 v58, v58, 4, v57
	global_load_dwordx4 v[0:3], v0, s[16:17]
	s_nop 0
	global_load_dwordx4 v[58:61], v58, s[16:17]
	s_waitcnt vmcnt(0)
	v_mul_f64 v[72:73], v[2:3], v[60:61]
	v_fma_f64 v[72:73], v[0:1], v[58:59], -v[72:73]
	v_mul_f64 v[0:1], v[0:1], v[60:61]
	v_fma_f64 v[2:3], v[2:3], v[58:59], v[0:1]
	v_mul_f64 v[0:1], v[6:7], v[2:3]
	v_mul_f64 v[2:3], v[4:5], v[2:3]
	v_fma_f64 v[0:1], v[4:5], v[72:73], v[0:1]
	v_add_u32_e32 v4, 13, v71
	v_mul_lo_u32 v58, v70, v4
	v_fma_f64 v[2:3], v[6:7], v[72:73], -v[2:3]
	v_lshlrev_b32_sdwa v4, v56, v58 dst_sel:DWORD dst_unused:UNUSED_PAD src0_sel:DWORD src1_sel:BYTE_0
	v_bfe_u32 v58, v58, 8, 8
	v_lshl_or_b32 v58, v58, 4, v57
	global_load_dwordx4 v[4:7], v4, s[16:17]
	s_nop 0
	global_load_dwordx4 v[58:61], v58, s[16:17]
	s_waitcnt vmcnt(0)
	v_mul_f64 v[72:73], v[6:7], v[60:61]
	v_fma_f64 v[72:73], v[4:5], v[58:59], -v[72:73]
	v_mul_f64 v[4:5], v[4:5], v[60:61]
	v_fma_f64 v[6:7], v[6:7], v[58:59], v[4:5]
	v_mul_f64 v[4:5], v[6:7], v[54:55]
	v_mul_f64 v[6:7], v[6:7], v[8:9]
	v_fma_f64 v[4:5], v[72:73], v[8:9], v[4:5]
	v_add_u32_e32 v8, 26, v71
	v_mul_lo_u32 v8, v70, v8
	v_fma_f64 v[6:7], v[72:73], v[54:55], -v[6:7]
	v_lshlrev_b32_sdwa v9, v56, v8 dst_sel:DWORD dst_unused:UNUSED_PAD src0_sel:DWORD src1_sel:BYTE_0
	v_bfe_u32 v8, v8, 8, 8
	v_lshl_or_b32 v8, v8, 4, v57
	global_load_dwordx4 v[58:61], v9, s[16:17]
	global_load_dwordx4 v[72:75], v8, s[16:17]
	s_waitcnt vmcnt(0)
	v_mul_f64 v[8:9], v[60:61], v[74:75]
	v_fma_f64 v[54:55], v[58:59], v[72:73], -v[8:9]
	v_mul_f64 v[8:9], v[58:59], v[74:75]
	v_fma_f64 v[58:59], v[60:61], v[72:73], v[8:9]
	v_mul_f64 v[8:9], v[12:13], v[58:59]
	v_fma_f64 v[8:9], v[10:11], v[54:55], v[8:9]
	v_mul_f64 v[10:11], v[10:11], v[58:59]
	v_fma_f64 v[10:11], v[12:13], v[54:55], -v[10:11]
	v_add_u32_e32 v12, 39, v71
	v_mul_lo_u32 v12, v70, v12
	v_lshlrev_b32_sdwa v13, v56, v12 dst_sel:DWORD dst_unused:UNUSED_PAD src0_sel:DWORD src1_sel:BYTE_0
	v_bfe_u32 v12, v12, 8, 8
	v_lshl_or_b32 v12, v12, 4, v57
	global_load_dwordx4 v[58:61], v13, s[16:17]
	global_load_dwordx4 v[72:75], v12, s[16:17]
	s_waitcnt vmcnt(0)
	v_mul_f64 v[12:13], v[60:61], v[74:75]
	v_fma_f64 v[54:55], v[58:59], v[72:73], -v[12:13]
	v_mul_f64 v[12:13], v[58:59], v[74:75]
	v_fma_f64 v[58:59], v[60:61], v[72:73], v[12:13]
	v_mul_f64 v[12:13], v[16:17], v[58:59]
	v_fma_f64 v[12:13], v[14:15], v[54:55], v[12:13]
	v_mul_f64 v[14:15], v[14:15], v[58:59]
	v_fma_f64 v[14:15], v[16:17], v[54:55], -v[14:15]
	v_add_u32_e32 v16, 52, v71
	v_mul_lo_u32 v16, v70, v16
	v_lshlrev_b32_sdwa v17, v56, v16 dst_sel:DWORD dst_unused:UNUSED_PAD src0_sel:DWORD src1_sel:BYTE_0
	v_bfe_u32 v16, v16, 8, 8
	v_lshl_or_b32 v16, v16, 4, v57
	global_load_dwordx4 v[58:61], v17, s[16:17]
	global_load_dwordx4 v[72:75], v16, s[16:17]
	s_waitcnt vmcnt(0)
	v_mul_f64 v[16:17], v[60:61], v[74:75]
	v_fma_f64 v[54:55], v[58:59], v[72:73], -v[16:17]
	v_mul_f64 v[16:17], v[58:59], v[74:75]
	v_fma_f64 v[58:59], v[60:61], v[72:73], v[16:17]
	v_mul_f64 v[16:17], v[20:21], v[58:59]
	v_fma_f64 v[16:17], v[18:19], v[54:55], v[16:17]
	v_mul_f64 v[18:19], v[18:19], v[58:59]
	v_fma_f64 v[18:19], v[20:21], v[54:55], -v[18:19]
	v_add_u32_e32 v20, 0x41, v71
	v_mul_lo_u32 v20, v70, v20
	v_lshlrev_b32_sdwa v21, v56, v20 dst_sel:DWORD dst_unused:UNUSED_PAD src0_sel:DWORD src1_sel:BYTE_0
	v_bfe_u32 v20, v20, 8, 8
	v_lshl_or_b32 v20, v20, 4, v57
	global_load_dwordx4 v[58:61], v21, s[16:17]
	global_load_dwordx4 v[72:75], v20, s[16:17]
	s_waitcnt vmcnt(0)
	v_mul_f64 v[20:21], v[60:61], v[74:75]
	v_fma_f64 v[54:55], v[58:59], v[72:73], -v[20:21]
	v_mul_f64 v[20:21], v[58:59], v[74:75]
	v_fma_f64 v[58:59], v[60:61], v[72:73], v[20:21]
	v_mul_f64 v[20:21], v[24:25], v[58:59]
	v_fma_f64 v[20:21], v[22:23], v[54:55], v[20:21]
	v_mul_f64 v[22:23], v[22:23], v[58:59]
	v_fma_f64 v[22:23], v[24:25], v[54:55], -v[22:23]
	v_add_u32_e32 v24, 0x4e, v71
	v_mul_lo_u32 v24, v70, v24
	v_lshlrev_b32_sdwa v25, v56, v24 dst_sel:DWORD dst_unused:UNUSED_PAD src0_sel:DWORD src1_sel:BYTE_0
	v_bfe_u32 v24, v24, 8, 8
	v_lshl_or_b32 v24, v24, 4, v57
	global_load_dwordx4 v[58:61], v25, s[16:17]
	global_load_dwordx4 v[72:75], v24, s[16:17]
	s_waitcnt vmcnt(0)
	v_mul_f64 v[24:25], v[60:61], v[74:75]
	v_fma_f64 v[54:55], v[58:59], v[72:73], -v[24:25]
	v_mul_f64 v[24:25], v[58:59], v[74:75]
	v_fma_f64 v[58:59], v[60:61], v[72:73], v[24:25]
	v_mul_f64 v[24:25], v[28:29], v[58:59]
	v_fma_f64 v[24:25], v[26:27], v[54:55], v[24:25]
	v_mul_f64 v[26:27], v[26:27], v[58:59]
	v_fma_f64 v[26:27], v[28:29], v[54:55], -v[26:27]
	v_add_u32_e32 v28, 0x5b, v71
	v_mul_lo_u32 v28, v70, v28
	v_lshlrev_b32_sdwa v29, v56, v28 dst_sel:DWORD dst_unused:UNUSED_PAD src0_sel:DWORD src1_sel:BYTE_0
	v_bfe_u32 v28, v28, 8, 8
	v_lshl_or_b32 v28, v28, 4, v57
	global_load_dwordx4 v[58:61], v29, s[16:17]
	global_load_dwordx4 v[72:75], v28, s[16:17]
	s_waitcnt vmcnt(0)
	v_mul_f64 v[28:29], v[60:61], v[74:75]
	v_fma_f64 v[54:55], v[58:59], v[72:73], -v[28:29]
	v_mul_f64 v[28:29], v[58:59], v[74:75]
	v_fma_f64 v[58:59], v[60:61], v[72:73], v[28:29]
	v_mul_f64 v[28:29], v[32:33], v[58:59]
	v_fma_f64 v[28:29], v[30:31], v[54:55], v[28:29]
	v_mul_f64 v[30:31], v[30:31], v[58:59]
	v_fma_f64 v[30:31], v[32:33], v[54:55], -v[30:31]
	v_add_u32_e32 v32, 0x68, v71
	v_mul_lo_u32 v32, v70, v32
	v_lshlrev_b32_sdwa v33, v56, v32 dst_sel:DWORD dst_unused:UNUSED_PAD src0_sel:DWORD src1_sel:BYTE_0
	v_bfe_u32 v32, v32, 8, 8
	v_lshl_or_b32 v32, v32, 4, v57
	global_load_dwordx4 v[58:61], v33, s[16:17]
	global_load_dwordx4 v[72:75], v32, s[16:17]
	s_waitcnt vmcnt(0)
	v_mul_f64 v[32:33], v[60:61], v[74:75]
	v_fma_f64 v[54:55], v[58:59], v[72:73], -v[32:33]
	v_mul_f64 v[32:33], v[58:59], v[74:75]
	v_fma_f64 v[58:59], v[60:61], v[72:73], v[32:33]
	v_mul_f64 v[32:33], v[36:37], v[58:59]
	v_fma_f64 v[32:33], v[34:35], v[54:55], v[32:33]
	v_mul_f64 v[34:35], v[34:35], v[58:59]
	v_fma_f64 v[34:35], v[36:37], v[54:55], -v[34:35]
	v_add_u32_e32 v36, 0x75, v71
	v_mul_lo_u32 v36, v70, v36
	v_lshlrev_b32_sdwa v37, v56, v36 dst_sel:DWORD dst_unused:UNUSED_PAD src0_sel:DWORD src1_sel:BYTE_0
	v_bfe_u32 v36, v36, 8, 8
	v_lshl_or_b32 v36, v36, 4, v57
	global_load_dwordx4 v[58:61], v37, s[16:17]
	global_load_dwordx4 v[72:75], v36, s[16:17]
	s_waitcnt vmcnt(0)
	v_mul_f64 v[36:37], v[60:61], v[74:75]
	v_fma_f64 v[54:55], v[58:59], v[72:73], -v[36:37]
	v_mul_f64 v[36:37], v[58:59], v[74:75]
	v_fma_f64 v[58:59], v[60:61], v[72:73], v[36:37]
	v_mul_f64 v[36:37], v[40:41], v[58:59]
	v_fma_f64 v[36:37], v[38:39], v[54:55], v[36:37]
	v_mul_f64 v[38:39], v[38:39], v[58:59]
	v_fma_f64 v[38:39], v[40:41], v[54:55], -v[38:39]
	v_add_u32_e32 v40, 0x82, v71
	v_mul_lo_u32 v40, v70, v40
	v_lshlrev_b32_sdwa v41, v56, v40 dst_sel:DWORD dst_unused:UNUSED_PAD src0_sel:DWORD src1_sel:BYTE_0
	v_bfe_u32 v40, v40, 8, 8
	v_lshl_or_b32 v40, v40, 4, v57
	global_load_dwordx4 v[58:61], v41, s[16:17]
	global_load_dwordx4 v[72:75], v40, s[16:17]
	s_waitcnt vmcnt(0)
	v_mul_f64 v[40:41], v[60:61], v[74:75]
	v_fma_f64 v[54:55], v[58:59], v[72:73], -v[40:41]
	v_mul_f64 v[40:41], v[58:59], v[74:75]
	v_fma_f64 v[58:59], v[60:61], v[72:73], v[40:41]
	v_mul_f64 v[40:41], v[44:45], v[58:59]
	v_fma_f64 v[40:41], v[42:43], v[54:55], v[40:41]
	v_mul_f64 v[42:43], v[42:43], v[58:59]
	v_fma_f64 v[42:43], v[44:45], v[54:55], -v[42:43]
	v_add_u32_e32 v44, 0x8f, v71
	v_mul_lo_u32 v44, v70, v44
	v_lshlrev_b32_sdwa v45, v56, v44 dst_sel:DWORD dst_unused:UNUSED_PAD src0_sel:DWORD src1_sel:BYTE_0
	v_bfe_u32 v44, v44, 8, 8
	v_lshl_or_b32 v44, v44, 4, v57
	global_load_dwordx4 v[58:61], v45, s[16:17]
	global_load_dwordx4 v[72:75], v44, s[16:17]
	s_waitcnt vmcnt(0)
	v_mul_f64 v[44:45], v[60:61], v[74:75]
	v_fma_f64 v[54:55], v[58:59], v[72:73], -v[44:45]
	v_mul_f64 v[44:45], v[58:59], v[74:75]
	v_fma_f64 v[58:59], v[60:61], v[72:73], v[44:45]
	v_mul_f64 v[44:45], v[52:53], v[58:59]
	v_fma_f64 v[44:45], v[46:47], v[54:55], v[44:45]
	v_mul_f64 v[46:47], v[46:47], v[58:59]
	v_fma_f64 v[46:47], v[52:53], v[54:55], -v[46:47]
	v_add_u32_e32 v52, 0x9c, v71
	v_mul_lo_u32 v52, v70, v52
	v_lshlrev_b32_sdwa v53, v56, v52 dst_sel:DWORD dst_unused:UNUSED_PAD src0_sel:DWORD src1_sel:BYTE_0
	v_bfe_u32 v52, v52, 8, 8
	v_lshl_or_b32 v52, v52, 4, v57
	global_load_dwordx4 v[58:61], v53, s[16:17]
	global_load_dwordx4 v[54:57], v52, s[16:17]
	s_waitcnt vmcnt(0)
	s_barrier
	v_mul_f64 v[52:53], v[60:61], v[56:57]
	v_mul_f64 v[56:57], v[58:59], v[56:57]
	v_fma_f64 v[52:53], v[58:59], v[54:55], -v[52:53]
	v_fma_f64 v[56:57], v[60:61], v[54:55], v[56:57]
	v_mul_f64 v[54:55], v[48:49], v[56:57]
	v_fma_f64 v[54:55], v[50:51], v[52:53], v[54:55]
	v_mul_f64 v[50:51], v[50:51], v[56:57]
	v_fma_f64 v[56:57], v[48:49], v[52:53], -v[50:51]
	ds_write_b128 v69, v[0:3]
	ds_write_b128 v69, v[4:7] offset:208
	ds_write_b128 v69, v[8:11] offset:416
	;; [unrolled: 1-line block ×12, first 2 shown]
	s_waitcnt lgkmcnt(0)
	s_barrier
	s_and_saveexec_b64 s[0:1], s[6:7]
	s_cbranch_execz .LBB0_16
; %bb.15:
	v_mad_u64_u32 v[4:5], s[6:7], s10, v67, 0
	s_mul_i32 s0, s3, s24
	s_mul_hi_u32 s1, s2, s24
	s_add_i32 s1, s1, s0
	s_mul_i32 s0, s2, s24
	v_mad_u64_u32 v[6:7], s[2:3], s8, v62, 0
	v_mov_b32_e32 v0, v5
	v_mad_u64_u32 v[0:1], s[2:3], s11, v67, v[0:1]
	v_mov_b32_e32 v1, v7
	v_mad_u64_u32 v[1:2], s[2:3], s9, v62, v[1:2]
	s_lshl_b64 s[0:1], s[0:1], 4
	s_add_u32 s2, s14, s0
	v_mov_b32_e32 v5, v0
	s_addc_u32 s3, s15, s1
	s_lshl_b64 s[0:1], s[4:5], 4
	v_mul_u32_u24_e32 v0, 0xa90, v67
	s_add_u32 s0, s2, s0
	v_lshlrev_b64 v[4:5], 4, v[4:5]
	v_add3_u32 v12, 0, v0, v68
	s_addc_u32 s1, s3, s1
	v_mov_b32_e32 v7, v1
	ds_read_b128 v[0:3], v12
	v_mov_b32_e32 v8, s1
	v_add_co_u32_e32 v13, vcc, s0, v4
	v_addc_co_u32_e32 v14, vcc, v8, v5, vcc
	v_lshlrev_b64 v[4:5], 4, v[6:7]
	v_mad_u64_u32 v[8:9], s[0:1], s8, v66, 0
	v_add_co_u32_e32 v10, vcc, v13, v4
	v_addc_co_u32_e32 v11, vcc, v14, v5, vcc
	ds_read_b128 v[4:7], v12 offset:208
	s_waitcnt lgkmcnt(1)
	global_store_dwordx4 v[10:11], v[0:3], off
	v_mad_u64_u32 v[10:11], s[0:1], s8, v65, 0
	v_mov_b32_e32 v0, v9
	v_mad_u64_u32 v[0:1], s[0:1], s9, v66, v[0:1]
	v_mov_b32_e32 v2, v11
	;; [unrolled: 2-line block ×3, first 2 shown]
	v_lshlrev_b64 v[0:1], 4, v[8:9]
	v_mov_b32_e32 v11, v2
	v_add_co_u32_e32 v0, vcc, v13, v0
	v_addc_co_u32_e32 v1, vcc, v14, v1, vcc
	s_waitcnt lgkmcnt(0)
	global_store_dwordx4 v[0:1], v[4:7], off
	ds_read_b128 v[0:3], v12 offset:416
	v_lshlrev_b64 v[4:5], 4, v[10:11]
	v_mad_u64_u32 v[8:9], s[0:1], s8, v64, 0
	v_add_co_u32_e32 v10, vcc, v13, v4
	v_addc_co_u32_e32 v11, vcc, v14, v5, vcc
	ds_read_b128 v[4:7], v12 offset:624
	s_waitcnt lgkmcnt(1)
	global_store_dwordx4 v[10:11], v[0:3], off
	v_mad_u64_u32 v[10:11], s[0:1], s8, v63, 0
	v_mov_b32_e32 v0, v9
	v_mad_u64_u32 v[0:1], s[0:1], s9, v64, v[0:1]
	v_mov_b32_e32 v2, v11
	;; [unrolled: 2-line block ×3, first 2 shown]
	v_lshlrev_b64 v[0:1], 4, v[8:9]
	v_mov_b32_e32 v11, v2
	v_add_co_u32_e32 v0, vcc, v13, v0
	v_addc_co_u32_e32 v1, vcc, v14, v1, vcc
	s_waitcnt lgkmcnt(0)
	global_store_dwordx4 v[0:1], v[4:7], off
	ds_read_b128 v[0:3], v12 offset:832
	v_add_u32_e32 v15, 0x41, v62
	v_lshlrev_b64 v[4:5], 4, v[10:11]
	v_mad_u64_u32 v[8:9], s[0:1], s8, v15, 0
	v_add_co_u32_e32 v10, vcc, v13, v4
	v_addc_co_u32_e32 v11, vcc, v14, v5, vcc
	ds_read_b128 v[4:7], v12 offset:1040
	s_waitcnt lgkmcnt(1)
	global_store_dwordx4 v[10:11], v[0:3], off
	s_nop 0
	v_mov_b32_e32 v0, v9
	v_add_u32_e32 v3, 0x4e, v62
	v_mad_u64_u32 v[0:1], s[0:1], s9, v15, v[0:1]
	v_mad_u64_u32 v[10:11], s[0:1], s8, v3, 0
	v_mov_b32_e32 v9, v0
	v_lshlrev_b64 v[0:1], 4, v[8:9]
	v_mov_b32_e32 v2, v11
	v_mad_u64_u32 v[2:3], s[0:1], s9, v3, v[2:3]
	v_add_co_u32_e32 v0, vcc, v13, v0
	v_addc_co_u32_e32 v1, vcc, v14, v1, vcc
	s_waitcnt lgkmcnt(0)
	global_store_dwordx4 v[0:1], v[4:7], off
	v_mov_b32_e32 v11, v2
	ds_read_b128 v[0:3], v12 offset:1248
	v_add_u32_e32 v15, 0x5b, v62
	v_lshlrev_b64 v[4:5], 4, v[10:11]
	v_mad_u64_u32 v[8:9], s[0:1], s8, v15, 0
	v_add_co_u32_e32 v10, vcc, v13, v4
	v_addc_co_u32_e32 v11, vcc, v14, v5, vcc
	ds_read_b128 v[4:7], v12 offset:1456
	s_waitcnt lgkmcnt(1)
	global_store_dwordx4 v[10:11], v[0:3], off
	s_nop 0
	v_mov_b32_e32 v0, v9
	v_add_u32_e32 v3, 0x68, v62
	v_mad_u64_u32 v[0:1], s[0:1], s9, v15, v[0:1]
	v_mad_u64_u32 v[10:11], s[0:1], s8, v3, 0
	v_mov_b32_e32 v9, v0
	v_lshlrev_b64 v[0:1], 4, v[8:9]
	v_mov_b32_e32 v2, v11
	v_mad_u64_u32 v[2:3], s[0:1], s9, v3, v[2:3]
	v_add_co_u32_e32 v0, vcc, v13, v0
	v_addc_co_u32_e32 v1, vcc, v14, v1, vcc
	s_waitcnt lgkmcnt(0)
	global_store_dwordx4 v[0:1], v[4:7], off
	v_mov_b32_e32 v11, v2
	;; [unrolled: 23-line block ×4, first 2 shown]
	ds_read_b128 v[0:3], v12 offset:2496
	v_lshlrev_b64 v[4:5], 4, v[10:11]
	v_add_co_u32_e32 v4, vcc, v13, v4
	v_addc_co_u32_e32 v5, vcc, v14, v5, vcc
	s_waitcnt lgkmcnt(0)
	global_store_dwordx4 v[4:5], v[0:3], off
.LBB0_16:
	s_endpgm
	.section	.rodata,"a",@progbits
	.p2align	6, 0x0
	.amdhsa_kernel fft_rtc_back_len169_factors_13_13_wgs_156_tpt_13_dp_op_CI_CI_sbcc_twdbase8_2step
		.amdhsa_group_segment_fixed_size 0
		.amdhsa_private_segment_fixed_size 0
		.amdhsa_kernarg_size 112
		.amdhsa_user_sgpr_count 6
		.amdhsa_user_sgpr_private_segment_buffer 1
		.amdhsa_user_sgpr_dispatch_ptr 0
		.amdhsa_user_sgpr_queue_ptr 0
		.amdhsa_user_sgpr_kernarg_segment_ptr 1
		.amdhsa_user_sgpr_dispatch_id 0
		.amdhsa_user_sgpr_flat_scratch_init 0
		.amdhsa_user_sgpr_private_segment_size 0
		.amdhsa_uses_dynamic_stack 0
		.amdhsa_system_sgpr_private_segment_wavefront_offset 0
		.amdhsa_system_sgpr_workgroup_id_x 1
		.amdhsa_system_sgpr_workgroup_id_y 0
		.amdhsa_system_sgpr_workgroup_id_z 0
		.amdhsa_system_sgpr_workgroup_info 0
		.amdhsa_system_vgpr_workitem_id 0
		.amdhsa_next_free_vgpr 112
		.amdhsa_next_free_sgpr 57
		.amdhsa_reserve_vcc 1
		.amdhsa_reserve_flat_scratch 0
		.amdhsa_float_round_mode_32 0
		.amdhsa_float_round_mode_16_64 0
		.amdhsa_float_denorm_mode_32 3
		.amdhsa_float_denorm_mode_16_64 3
		.amdhsa_dx10_clamp 1
		.amdhsa_ieee_mode 1
		.amdhsa_fp16_overflow 0
		.amdhsa_exception_fp_ieee_invalid_op 0
		.amdhsa_exception_fp_denorm_src 0
		.amdhsa_exception_fp_ieee_div_zero 0
		.amdhsa_exception_fp_ieee_overflow 0
		.amdhsa_exception_fp_ieee_underflow 0
		.amdhsa_exception_fp_ieee_inexact 0
		.amdhsa_exception_int_div_zero 0
	.end_amdhsa_kernel
	.text
.Lfunc_end0:
	.size	fft_rtc_back_len169_factors_13_13_wgs_156_tpt_13_dp_op_CI_CI_sbcc_twdbase8_2step, .Lfunc_end0-fft_rtc_back_len169_factors_13_13_wgs_156_tpt_13_dp_op_CI_CI_sbcc_twdbase8_2step
                                        ; -- End function
	.section	.AMDGPU.csdata,"",@progbits
; Kernel info:
; codeLenInByte = 13344
; NumSgprs: 61
; NumVgprs: 112
; ScratchSize: 0
; MemoryBound: 0
; FloatMode: 240
; IeeeMode: 1
; LDSByteSize: 0 bytes/workgroup (compile time only)
; SGPRBlocks: 7
; VGPRBlocks: 27
; NumSGPRsForWavesPerEU: 61
; NumVGPRsForWavesPerEU: 112
; Occupancy: 2
; WaveLimiterHint : 1
; COMPUTE_PGM_RSRC2:SCRATCH_EN: 0
; COMPUTE_PGM_RSRC2:USER_SGPR: 6
; COMPUTE_PGM_RSRC2:TRAP_HANDLER: 0
; COMPUTE_PGM_RSRC2:TGID_X_EN: 1
; COMPUTE_PGM_RSRC2:TGID_Y_EN: 0
; COMPUTE_PGM_RSRC2:TGID_Z_EN: 0
; COMPUTE_PGM_RSRC2:TIDIG_COMP_CNT: 0
	.type	__hip_cuid_6b70937dbc20da80,@object ; @__hip_cuid_6b70937dbc20da80
	.section	.bss,"aw",@nobits
	.globl	__hip_cuid_6b70937dbc20da80
__hip_cuid_6b70937dbc20da80:
	.byte	0                               ; 0x0
	.size	__hip_cuid_6b70937dbc20da80, 1

	.ident	"AMD clang version 19.0.0git (https://github.com/RadeonOpenCompute/llvm-project roc-6.4.0 25133 c7fe45cf4b819c5991fe208aaa96edf142730f1d)"
	.section	".note.GNU-stack","",@progbits
	.addrsig
	.addrsig_sym __hip_cuid_6b70937dbc20da80
	.amdgpu_metadata
---
amdhsa.kernels:
  - .args:
      - .actual_access:  read_only
        .address_space:  global
        .offset:         0
        .size:           8
        .value_kind:     global_buffer
      - .address_space:  global
        .offset:         8
        .size:           8
        .value_kind:     global_buffer
      - .offset:         16
        .size:           8
        .value_kind:     by_value
      - .actual_access:  read_only
        .address_space:  global
        .offset:         24
        .size:           8
        .value_kind:     global_buffer
      - .actual_access:  read_only
        .address_space:  global
        .offset:         32
        .size:           8
        .value_kind:     global_buffer
      - .actual_access:  read_only
        .address_space:  global
        .offset:         40
        .size:           8
        .value_kind:     global_buffer
      - .offset:         48
        .size:           8
        .value_kind:     by_value
      - .actual_access:  read_only
        .address_space:  global
        .offset:         56
        .size:           8
        .value_kind:     global_buffer
      - .actual_access:  read_only
        .address_space:  global
        .offset:         64
        .size:           8
        .value_kind:     global_buffer
      - .offset:         72
        .size:           4
        .value_kind:     by_value
      - .actual_access:  read_only
        .address_space:  global
        .offset:         80
        .size:           8
        .value_kind:     global_buffer
      - .actual_access:  read_only
        .address_space:  global
        .offset:         88
        .size:           8
        .value_kind:     global_buffer
      - .actual_access:  read_only
        .address_space:  global
        .offset:         96
        .size:           8
        .value_kind:     global_buffer
      - .actual_access:  write_only
        .address_space:  global
        .offset:         104
        .size:           8
        .value_kind:     global_buffer
    .group_segment_fixed_size: 0
    .kernarg_segment_align: 8
    .kernarg_segment_size: 112
    .language:       OpenCL C
    .language_version:
      - 2
      - 0
    .max_flat_workgroup_size: 156
    .name:           fft_rtc_back_len169_factors_13_13_wgs_156_tpt_13_dp_op_CI_CI_sbcc_twdbase8_2step
    .private_segment_fixed_size: 0
    .sgpr_count:     61
    .sgpr_spill_count: 0
    .symbol:         fft_rtc_back_len169_factors_13_13_wgs_156_tpt_13_dp_op_CI_CI_sbcc_twdbase8_2step.kd
    .uniform_work_group_size: 1
    .uses_dynamic_stack: false
    .vgpr_count:     112
    .vgpr_spill_count: 0
    .wavefront_size: 64
amdhsa.target:   amdgcn-amd-amdhsa--gfx906
amdhsa.version:
  - 1
  - 2
...

	.end_amdgpu_metadata
